;; amdgpu-corpus repo=ROCm/rocFFT kind=compiled arch=gfx950 opt=O3
	.text
	.amdgcn_target "amdgcn-amd-amdhsa--gfx950"
	.amdhsa_code_object_version 6
	.protected	fft_rtc_back_len1440_factors_10_16_3_3_wgs_90_tpt_90_halfLds_sp_ip_CI_sbrr_dirReg ; -- Begin function fft_rtc_back_len1440_factors_10_16_3_3_wgs_90_tpt_90_halfLds_sp_ip_CI_sbrr_dirReg
	.globl	fft_rtc_back_len1440_factors_10_16_3_3_wgs_90_tpt_90_halfLds_sp_ip_CI_sbrr_dirReg
	.p2align	8
	.type	fft_rtc_back_len1440_factors_10_16_3_3_wgs_90_tpt_90_halfLds_sp_ip_CI_sbrr_dirReg,@function
fft_rtc_back_len1440_factors_10_16_3_3_wgs_90_tpt_90_halfLds_sp_ip_CI_sbrr_dirReg: ; @fft_rtc_back_len1440_factors_10_16_3_3_wgs_90_tpt_90_halfLds_sp_ip_CI_sbrr_dirReg
; %bb.0:
	s_load_dwordx2 s[12:13], s[0:1], 0x18
	s_load_dwordx4 s[8:11], s[0:1], 0x0
	s_load_dwordx2 s[4:5], s[0:1], 0x50
	v_mul_u32_u24_e32 v1, 0x2d9, v0
	v_add_u32_sdwa v6, s2, v1 dst_sel:DWORD dst_unused:UNUSED_PAD src0_sel:DWORD src1_sel:WORD_1
	s_waitcnt lgkmcnt(0)
	s_load_dwordx2 s[6:7], s[12:13], 0x0
	v_mov_b32_e32 v4, 0
	v_cmp_lt_u64_e64 s[2:3], s[10:11], 2
	v_mov_b32_e32 v7, v4
	s_and_b64 vcc, exec, s[2:3]
	v_mov_b64_e32 v[2:3], 0
	s_cbranch_vccnz .LBB0_8
; %bb.1:
	s_load_dwordx2 s[2:3], s[0:1], 0x10
	s_add_u32 s14, s12, 8
	s_addc_u32 s15, s13, 0
	s_mov_b64 s[16:17], 1
	v_mov_b64_e32 v[2:3], 0
	s_waitcnt lgkmcnt(0)
	s_add_u32 s18, s2, 8
	s_addc_u32 s19, s3, 0
.LBB0_2:                                ; =>This Inner Loop Header: Depth=1
	s_load_dwordx2 s[20:21], s[18:19], 0x0
                                        ; implicit-def: $vgpr8_vgpr9
	s_waitcnt lgkmcnt(0)
	v_or_b32_e32 v5, s21, v7
	v_cmp_ne_u64_e32 vcc, 0, v[4:5]
	s_and_saveexec_b64 s[2:3], vcc
	s_xor_b64 s[22:23], exec, s[2:3]
	s_cbranch_execz .LBB0_4
; %bb.3:                                ;   in Loop: Header=BB0_2 Depth=1
	v_cvt_f32_u32_e32 v1, s20
	v_cvt_f32_u32_e32 v5, s21
	s_sub_u32 s2, 0, s20
	s_subb_u32 s3, 0, s21
	v_fmac_f32_e32 v1, 0x4f800000, v5
	v_rcp_f32_e32 v1, v1
	s_nop 0
	v_mul_f32_e32 v1, 0x5f7ffffc, v1
	v_mul_f32_e32 v5, 0x2f800000, v1
	v_trunc_f32_e32 v5, v5
	v_fmac_f32_e32 v1, 0xcf800000, v5
	v_cvt_u32_f32_e32 v5, v5
	v_cvt_u32_f32_e32 v1, v1
	v_mul_lo_u32 v8, s2, v5
	v_mul_hi_u32 v10, s2, v1
	v_mul_lo_u32 v9, s3, v1
	v_add_u32_e32 v10, v10, v8
	v_mul_lo_u32 v12, s2, v1
	v_add_u32_e32 v13, v10, v9
	v_mul_hi_u32 v8, v1, v12
	v_mul_hi_u32 v11, v1, v13
	v_mul_lo_u32 v10, v1, v13
	v_mov_b32_e32 v9, v4
	v_lshl_add_u64 v[8:9], v[8:9], 0, v[10:11]
	v_mul_hi_u32 v11, v5, v12
	v_mul_lo_u32 v12, v5, v12
	v_add_co_u32_e32 v8, vcc, v8, v12
	v_mul_hi_u32 v10, v5, v13
	s_nop 0
	v_addc_co_u32_e32 v8, vcc, v9, v11, vcc
	v_mov_b32_e32 v9, v4
	s_nop 0
	v_addc_co_u32_e32 v11, vcc, 0, v10, vcc
	v_mul_lo_u32 v10, v5, v13
	v_lshl_add_u64 v[8:9], v[8:9], 0, v[10:11]
	v_add_co_u32_e32 v1, vcc, v1, v8
	v_mul_lo_u32 v10, s2, v1
	s_nop 0
	v_addc_co_u32_e32 v5, vcc, v5, v9, vcc
	v_mul_lo_u32 v8, s2, v5
	v_mul_hi_u32 v9, s2, v1
	v_add_u32_e32 v8, v9, v8
	v_mul_lo_u32 v9, s3, v1
	v_add_u32_e32 v12, v8, v9
	v_mul_hi_u32 v14, v5, v10
	v_mul_lo_u32 v15, v5, v10
	v_mul_hi_u32 v9, v1, v12
	v_mul_lo_u32 v8, v1, v12
	v_mul_hi_u32 v10, v1, v10
	v_mov_b32_e32 v11, v4
	v_lshl_add_u64 v[8:9], v[10:11], 0, v[8:9]
	v_add_co_u32_e32 v8, vcc, v8, v15
	v_mul_hi_u32 v13, v5, v12
	s_nop 0
	v_addc_co_u32_e32 v8, vcc, v9, v14, vcc
	v_mul_lo_u32 v10, v5, v12
	s_nop 0
	v_addc_co_u32_e32 v11, vcc, 0, v13, vcc
	v_mov_b32_e32 v9, v4
	v_lshl_add_u64 v[8:9], v[8:9], 0, v[10:11]
	v_add_co_u32_e32 v1, vcc, v1, v8
	v_mul_hi_u32 v10, v6, v1
	s_nop 0
	v_addc_co_u32_e32 v5, vcc, v5, v9, vcc
	v_mad_u64_u32 v[8:9], s[2:3], v6, v5, 0
	v_mov_b32_e32 v11, v4
	v_lshl_add_u64 v[8:9], v[10:11], 0, v[8:9]
	v_mad_u64_u32 v[12:13], s[2:3], v7, v1, 0
	v_add_co_u32_e32 v1, vcc, v8, v12
	v_mad_u64_u32 v[10:11], s[2:3], v7, v5, 0
	s_nop 0
	v_addc_co_u32_e32 v8, vcc, v9, v13, vcc
	v_mov_b32_e32 v9, v4
	s_nop 0
	v_addc_co_u32_e32 v11, vcc, 0, v11, vcc
	v_lshl_add_u64 v[8:9], v[8:9], 0, v[10:11]
	v_mul_lo_u32 v1, s21, v8
	v_mul_lo_u32 v5, s20, v9
	v_mad_u64_u32 v[10:11], s[2:3], s20, v8, 0
	v_add3_u32 v1, v11, v5, v1
	v_sub_u32_e32 v5, v7, v1
	v_mov_b32_e32 v11, s21
	v_sub_co_u32_e32 v14, vcc, v6, v10
	v_lshl_add_u64 v[12:13], v[8:9], 0, 1
	s_nop 0
	v_subb_co_u32_e64 v5, s[2:3], v5, v11, vcc
	v_subrev_co_u32_e64 v10, s[2:3], s20, v14
	v_subb_co_u32_e32 v1, vcc, v7, v1, vcc
	s_nop 0
	v_subbrev_co_u32_e64 v5, s[2:3], 0, v5, s[2:3]
	v_cmp_le_u32_e64 s[2:3], s21, v5
	v_cmp_le_u32_e32 vcc, s21, v1
	s_nop 0
	v_cndmask_b32_e64 v11, 0, -1, s[2:3]
	v_cmp_le_u32_e64 s[2:3], s20, v10
	s_nop 1
	v_cndmask_b32_e64 v10, 0, -1, s[2:3]
	v_cmp_eq_u32_e64 s[2:3], s21, v5
	s_nop 1
	v_cndmask_b32_e64 v5, v11, v10, s[2:3]
	v_lshl_add_u64 v[10:11], v[8:9], 0, 2
	v_cmp_ne_u32_e64 s[2:3], 0, v5
	s_nop 1
	v_cndmask_b32_e64 v5, v13, v11, s[2:3]
	v_cndmask_b32_e64 v11, 0, -1, vcc
	v_cmp_le_u32_e32 vcc, s20, v14
	s_nop 1
	v_cndmask_b32_e64 v13, 0, -1, vcc
	v_cmp_eq_u32_e32 vcc, s21, v1
	s_nop 1
	v_cndmask_b32_e32 v1, v11, v13, vcc
	v_cmp_ne_u32_e32 vcc, 0, v1
	v_cndmask_b32_e64 v1, v12, v10, s[2:3]
	s_nop 0
	v_cndmask_b32_e32 v9, v9, v5, vcc
	v_cndmask_b32_e32 v8, v8, v1, vcc
.LBB0_4:                                ;   in Loop: Header=BB0_2 Depth=1
	s_andn2_saveexec_b64 s[2:3], s[22:23]
	s_cbranch_execz .LBB0_6
; %bb.5:                                ;   in Loop: Header=BB0_2 Depth=1
	v_cvt_f32_u32_e32 v1, s20
	s_sub_i32 s22, 0, s20
	v_rcp_iflag_f32_e32 v1, v1
	s_nop 0
	v_mul_f32_e32 v1, 0x4f7ffffe, v1
	v_cvt_u32_f32_e32 v1, v1
	v_mul_lo_u32 v5, s22, v1
	v_mul_hi_u32 v5, v1, v5
	v_add_u32_e32 v1, v1, v5
	v_mul_hi_u32 v1, v6, v1
	v_mul_lo_u32 v5, v1, s20
	v_sub_u32_e32 v5, v6, v5
	v_add_u32_e32 v8, 1, v1
	v_subrev_u32_e32 v9, s20, v5
	v_cmp_le_u32_e32 vcc, s20, v5
	s_nop 1
	v_cndmask_b32_e32 v5, v5, v9, vcc
	v_cndmask_b32_e32 v1, v1, v8, vcc
	v_add_u32_e32 v8, 1, v1
	v_cmp_le_u32_e32 vcc, s20, v5
	v_mov_b32_e32 v9, v4
	s_nop 0
	v_cndmask_b32_e32 v8, v1, v8, vcc
.LBB0_6:                                ;   in Loop: Header=BB0_2 Depth=1
	s_or_b64 exec, exec, s[2:3]
	v_mad_u64_u32 v[10:11], s[2:3], v8, s20, 0
	s_load_dwordx2 s[2:3], s[14:15], 0x0
	v_mul_lo_u32 v1, v9, s20
	v_mul_lo_u32 v5, v8, s21
	v_add3_u32 v1, v11, v5, v1
	v_sub_co_u32_e32 v5, vcc, v6, v10
	s_add_u32 s16, s16, 1
	s_nop 0
	v_subb_co_u32_e32 v1, vcc, v7, v1, vcc
	s_addc_u32 s17, s17, 0
	s_waitcnt lgkmcnt(0)
	v_mul_lo_u32 v1, s2, v1
	v_mul_lo_u32 v6, s3, v5
	v_mad_u64_u32 v[2:3], s[2:3], s2, v5, v[2:3]
	s_add_u32 s14, s14, 8
	v_add3_u32 v3, v6, v3, v1
	s_addc_u32 s15, s15, 0
	v_mov_b64_e32 v[6:7], s[10:11]
	s_add_u32 s18, s18, 8
	v_cmp_ge_u64_e32 vcc, s[16:17], v[6:7]
	s_addc_u32 s19, s19, 0
	s_cbranch_vccnz .LBB0_9
; %bb.7:                                ;   in Loop: Header=BB0_2 Depth=1
	v_mov_b64_e32 v[6:7], v[8:9]
	s_branch .LBB0_2
.LBB0_8:
	v_mov_b64_e32 v[8:9], v[6:7]
.LBB0_9:
	s_lshl_b64 s[2:3], s[10:11], 3
	s_add_u32 s2, s12, s2
	s_addc_u32 s3, s13, s3
	s_load_dwordx2 s[10:11], s[2:3], 0x0
	s_load_dwordx2 s[12:13], s[0:1], 0x20
                                        ; implicit-def: $vgpr34
                                        ; implicit-def: $vgpr6
                                        ; implicit-def: $vgpr32
                                        ; implicit-def: $vgpr30
                                        ; implicit-def: $vgpr14
                                        ; implicit-def: $vgpr22
                                        ; implicit-def: $vgpr18
                                        ; implicit-def: $vgpr16
                                        ; implicit-def: $vgpr36
                                        ; implicit-def: $vgpr10
                                        ; implicit-def: $vgpr40
                                        ; implicit-def: $vgpr28
                                        ; implicit-def: $vgpr12
                                        ; implicit-def: $vgpr42
                                        ; implicit-def: $vgpr20
                                        ; implicit-def: $vgpr26
                                        ; implicit-def: $vgpr25
                                        ; implicit-def: $vgpr38
	s_waitcnt lgkmcnt(0)
	v_mad_u64_u32 v[2:3], s[0:1], s10, v8, v[2:3]
	v_mul_lo_u32 v1, s10, v9
	v_mul_lo_u32 v4, s11, v8
	s_mov_b32 s0, 0x2d82d83
	v_add3_u32 v3, v4, v3, v1
	v_mul_hi_u32 v1, v0, s0
	v_mul_u32_u24_e32 v1, 0x5a, v1
	v_cmp_gt_u64_e32 vcc, s[12:13], v[8:9]
	v_sub_u32_e32 v66, v0, v1
	v_lshl_add_u64 v[8:9], v[2:3], 3, s[4:5]
                                        ; implicit-def: $vgpr4
                                        ; implicit-def: $vgpr2
                                        ; implicit-def: $vgpr0
	s_and_saveexec_b64 s[2:3], vcc
	s_cbranch_execz .LBB0_13
; %bb.10:
	v_mad_u64_u32 v[0:1], s[0:1], s6, v66, 0
	v_mov_b32_e32 v2, v1
	v_mad_u64_u32 v[2:3], s[0:1], s7, v66, v[2:3]
	v_mov_b32_e32 v1, v2
	v_lshl_add_u64 v[0:1], v[0:1], 3, v[8:9]
	v_add_u32_e32 v3, 0x90, v66
	global_load_dwordx2 v[4:5], v[0:1], off
	v_mad_u64_u32 v[0:1], s[0:1], s6, v3, 0
	v_mov_b32_e32 v2, v1
	v_mad_u64_u32 v[2:3], s[0:1], s7, v3, v[2:3]
	v_add_u32_e32 v7, 0x120, v66
	v_mov_b32_e32 v1, v2
	v_mad_u64_u32 v[2:3], s[0:1], s6, v7, 0
	v_mov_b32_e32 v6, v3
	v_mad_u64_u32 v[6:7], s[0:1], s7, v7, v[6:7]
	v_add_u32_e32 v11, 0x1b0, v66
	v_mov_b32_e32 v3, v6
	;; [unrolled: 5-line block ×3, first 2 shown]
	v_mad_u64_u32 v[10:11], s[0:1], s6, v13, 0
	v_mov_b32_e32 v12, v11
	v_mad_u64_u32 v[12:13], s[0:1], s7, v13, v[12:13]
	v_mov_b32_e32 v11, v12
	v_lshl_add_u64 v[10:11], v[10:11], 3, v[8:9]
	v_add_u32_e32 v13, 0x2d0, v66
	global_load_dwordx2 v[26:27], v[10:11], off
	v_mad_u64_u32 v[10:11], s[0:1], s6, v13, 0
	v_mov_b32_e32 v12, v11
	v_mad_u64_u32 v[12:13], s[0:1], s7, v13, v[12:13]
	v_mov_b32_e32 v11, v12
	v_add_u32_e32 v13, 0x360, v66
	v_lshl_add_u64 v[14:15], v[10:11], 3, v[8:9]
	v_mad_u64_u32 v[10:11], s[0:1], s6, v13, 0
	v_mov_b32_e32 v12, v11
	v_mad_u64_u32 v[12:13], s[0:1], s7, v13, v[12:13]
	v_mov_b32_e32 v11, v12
	v_add_u32_e32 v13, 0x3f0, v66
	v_lshl_add_u64 v[16:17], v[10:11], 3, v[8:9]
	v_mad_u64_u32 v[10:11], s[0:1], s6, v13, 0
	v_mov_b32_e32 v12, v11
	v_mad_u64_u32 v[12:13], s[0:1], s7, v13, v[12:13]
	v_mov_b32_e32 v11, v12
	v_or_b32_e32 v13, 0x480, v66
	v_lshl_add_u64 v[18:19], v[10:11], 3, v[8:9]
	v_mad_u64_u32 v[10:11], s[0:1], s6, v13, 0
	v_mov_b32_e32 v12, v11
	v_mad_u64_u32 v[12:13], s[0:1], s7, v13, v[12:13]
	v_mov_b32_e32 v11, v12
	v_add_u32_e32 v13, 0x510, v66
	v_lshl_add_u64 v[20:21], v[10:11], 3, v[8:9]
	v_mad_u64_u32 v[10:11], s[0:1], s6, v13, 0
	v_mov_b32_e32 v12, v11
	v_mad_u64_u32 v[12:13], s[0:1], s7, v13, v[12:13]
	v_lshl_add_u64 v[6:7], v[6:7], 3, v[8:9]
	v_mov_b32_e32 v11, v12
	v_lshl_add_u64 v[0:1], v[0:1], 3, v[8:9]
	v_lshl_add_u64 v[2:3], v[2:3], 3, v[8:9]
	;; [unrolled: 1-line block ×3, first 2 shown]
	global_load_dwordx2 v[40:41], v[6:7], off
	global_load_dwordx2 v[44:45], v[2:3], off
	;; [unrolled: 1-line block ×8, first 2 shown]
	v_cmp_gt_u32_e64 s[0:1], 54, v66
                                        ; implicit-def: $vgpr21
                                        ; implicit-def: $vgpr17
                                        ; implicit-def: $vgpr19
                                        ; implicit-def: $vgpr1
                                        ; implicit-def: $vgpr23
                                        ; implicit-def: $vgpr15
                                        ; implicit-def: $vgpr31
                                        ; implicit-def: $vgpr33
                                        ; implicit-def: $vgpr7
                                        ; implicit-def: $vgpr3
	s_and_saveexec_b64 s[4:5], s[0:1]
	s_cbranch_execz .LBB0_12
; %bb.11:
	v_add_u32_e32 v3, 0x5a, v66
	v_mad_u64_u32 v[0:1], s[0:1], s6, v3, 0
	v_mov_b32_e32 v2, v1
	v_mad_u64_u32 v[2:3], s[0:1], s7, v3, v[2:3]
	v_mov_b32_e32 v1, v2
	v_add_u32_e32 v3, 0x17a, v66
	v_lshl_add_u64 v[18:19], v[0:1], 3, v[8:9]
	v_mad_u64_u32 v[0:1], s[0:1], s6, v3, 0
	v_mov_b32_e32 v2, v1
	v_mad_u64_u32 v[2:3], s[0:1], s7, v3, v[2:3]
	v_mov_b32_e32 v1, v2
	v_add_u32_e32 v3, 0x20a, v66
	v_lshl_add_u64 v[6:7], v[0:1], 3, v[8:9]
	v_mad_u64_u32 v[0:1], s[0:1], s6, v3, 0
	v_mov_b32_e32 v2, v1
	v_mad_u64_u32 v[2:3], s[0:1], s7, v3, v[2:3]
	v_mov_b32_e32 v1, v2
	v_lshl_add_u64 v[14:15], v[0:1], 3, v[8:9]
	global_load_dwordx2 v[2:3], v[6:7], off
	global_load_dwordx2 v[0:1], v[14:15], off
	v_add_u32_e32 v15, 0x29a, v66
	v_mad_u64_u32 v[6:7], s[0:1], s6, v15, 0
	v_mov_b32_e32 v14, v7
	v_mad_u64_u32 v[14:15], s[0:1], s7, v15, v[14:15]
	v_add_u32_e32 v17, 0x32a, v66
	v_mov_b32_e32 v7, v14
	v_mad_u64_u32 v[14:15], s[0:1], s6, v17, 0
	v_mov_b32_e32 v16, v15
	v_mad_u64_u32 v[16:17], s[0:1], s7, v17, v[16:17]
	v_add_u32_e32 v21, 0x3ba, v66
	v_mov_b32_e32 v15, v16
	;; [unrolled: 5-line block ×3, first 2 shown]
	v_mad_u64_u32 v[20:21], s[0:1], s6, v23, 0
	v_mov_b32_e32 v22, v21
	v_mad_u64_u32 v[22:23], s[0:1], s7, v23, v[22:23]
	v_lshl_add_u64 v[6:7], v[6:7], 3, v[8:9]
	v_lshl_add_u64 v[14:15], v[14:15], 3, v[8:9]
	v_mov_b32_e32 v21, v22
	v_lshl_add_u64 v[16:17], v[16:17], 3, v[8:9]
	v_lshl_add_u64 v[20:21], v[20:21], 3, v[8:9]
	global_load_dwordx2 v[34:35], v[6:7], off
	global_load_dwordx2 v[22:23], v[14:15], off
	;; [unrolled: 1-line block ×4, first 2 shown]
	v_add_u32_e32 v15, 0x4da, v66
	v_mad_u64_u32 v[6:7], s[0:1], s6, v15, 0
	v_mov_b32_e32 v14, v7
	v_mad_u64_u32 v[14:15], s[0:1], s7, v15, v[14:15]
	v_mov_b32_e32 v7, v14
	v_add_u32_e32 v15, 0x56a, v66
	v_lshl_add_u64 v[16:17], v[6:7], 3, v[8:9]
	v_mad_u64_u32 v[6:7], s[0:1], s6, v15, 0
	v_mov_b32_e32 v14, v7
	v_mad_u64_u32 v[14:15], s[0:1], s7, v15, v[14:15]
	v_add_u32_e32 v32, 0xea, v66
	v_mov_b32_e32 v7, v14
	v_lshl_add_u64 v[20:21], v[6:7], 3, v[8:9]
	global_load_dwordx2 v[6:7], v[16:17], off
	global_load_dwordx2 v[14:15], v[20:21], off
	v_mad_u64_u32 v[16:17], s[0:1], s6, v32, 0
	v_mov_b32_e32 v20, v17
	v_mad_u64_u32 v[20:21], s[0:1], s7, v32, v[20:21]
	v_mov_b32_e32 v17, v20
	v_lshl_add_u64 v[32:33], v[16:17], 3, v[8:9]
	global_load_dwordx2 v[20:21], v[18:19], off
	global_load_dwordx2 v[16:17], v[32:33], off
	s_waitcnt vmcnt(9)
	v_mov_b32_e32 v32, v2
	s_waitcnt vmcnt(8)
	v_mov_b32_e32 v18, v0
	;; [unrolled: 2-line block ×4, first 2 shown]
	v_mov_b32_e32 v0, v22
	s_waitcnt vmcnt(4)
	v_mov_b32_e32 v23, v31
	v_mov_b32_e32 v31, v36
	;; [unrolled: 1-line block ×3, first 2 shown]
	s_waitcnt vmcnt(2)
	v_mov_b32_e32 v22, v14
	v_mov_b32_e32 v14, v30
	;; [unrolled: 1-line block ×4, first 2 shown]
.LBB0_12:
	s_or_b64 exec, exec, s[4:5]
	s_waitcnt vmcnt(6)
	v_mov_b32_e32 v34, v45
	v_mov_b32_e32 v36, v5
	;; [unrolled: 1-line block ×4, first 2 shown]
	s_waitcnt vmcnt(3)
	v_mov_b32_e32 v27, v24
	s_waitcnt vmcnt(1)
	v_mov_b32_e32 v24, v39
.LBB0_13:
	s_or_b64 exec, exec, s[2:3]
	s_mov_b32 s4, 0x3f737871
	v_add_f32_e32 v45, v37, v38
	v_pk_add_f32 v[48:49], v[34:35], v[24:25] neg_lo:[0,1] neg_hi:[0,1]
	s_mov_b32 s2, 0x3f167918
	s_mov_b32 s3, s4
	v_fma_f32 v51, -0.5, v45, v4
	v_pk_mul_f32 v[46:47], v[48:49], s[2:3]
	v_mov_b32_e32 v5, v38
	v_mov_b32_e32 v44, v37
	v_add_f32_e32 v45, v47, v51
	v_sub_f32_e32 v50, v45, v46
	v_pk_add_f32 v[52:53], v[44:45], v[4:5] op_sel_hi:[0,1]
	v_pk_add_f32 v[44:45], v[38:39], v[26:27] op_sel_hi:[0,1] neg_lo:[0,1] neg_hi:[0,1]
	s_mov_b32 s5, s2
	v_mov_b32_e32 v53, v45
	v_sub_f32_e32 v39, v51, v47
	v_pk_add_f32 v[54:55], v[10:11], v[28:29] neg_lo:[0,1] neg_hi:[0,1]
	s_waitcnt vmcnt(0)
	v_pk_add_f32 v[44:45], v[40:41], v[12:13]
	v_add_f32_e32 v51, v46, v39
	v_pk_fma_f32 v[44:45], v[44:45], 0.5, v[42:43] op_sel_hi:[1,0,1] neg_lo:[1,0,0] neg_hi:[1,0,0]
	v_pk_mul_f32 v[46:47], v[54:55], s[4:5] op_sel_hi:[1,0]
	v_pk_add_f32 v[56:57], v[10:11], v[40:41] neg_lo:[0,1] neg_hi:[0,1]
	v_pk_add_f32 v[58:59], v[28:29], v[12:13] neg_lo:[0,1] neg_hi:[0,1]
	;; [unrolled: 1-line block ×3, first 2 shown]
	v_pk_add_f32 v[56:57], v[56:57], v[58:59]
	v_pk_add_f32 v[58:59], v[44:45], v[46:47] op_sel:[0,1] op_sel_hi:[1,0] neg_lo:[0,1] neg_hi:[0,1]
	v_pk_add_f32 v[44:45], v[46:47], v[44:45] op_sel:[1,0] op_sel_hi:[0,1]
	v_pk_mul_f32 v[46:47], v[60:61], s[2:3] op_sel_hi:[1,0]
	s_mov_b32 s10, 0x3e9e377a
	v_pk_add_f32 v[58:59], v[46:47], v[58:59] op_sel:[1,0] op_sel_hi:[0,1]
	v_pk_add_f32 v[46:47], v[44:45], v[46:47] op_sel:[0,1] op_sel_hi:[1,0] neg_lo:[0,1] neg_hi:[0,1]
	v_pk_fma_f32 v[44:45], v[56:57], s[10:11], v[58:59] op_sel_hi:[1,0,1]
	v_pk_fma_f32 v[46:47], v[56:57], s[10:11], v[46:47] op_sel_hi:[1,0,1]
	v_pk_add_f32 v[56:57], v[10:11], v[28:29]
	v_pk_add_f32 v[64:65], v[42:43], v[40:41]
	v_pk_fma_f32 v[56:57], v[56:57], 0.5, v[42:43] op_sel_hi:[1,0,1] neg_lo:[1,0,0] neg_hi:[1,0,0]
	v_pk_add_f32 v[40:41], v[40:41], v[10:11] neg_lo:[0,1] neg_hi:[0,1]
	v_pk_add_f32 v[42:43], v[12:13], v[28:29] neg_lo:[0,1] neg_hi:[0,1]
	v_pk_mul_f32 v[54:55], v[54:55], s[2:3] op_sel_hi:[1,0]
	v_pk_add_f32 v[40:41], v[40:41], v[42:43]
	v_pk_mul_f32 v[42:43], v[60:61], s[4:5] op_sel_hi:[1,0]
	v_pk_add_f32 v[74:75], v[18:19], v[22:23] neg_lo:[0,1] neg_hi:[0,1]
	v_pk_add_f32 v[58:59], v[56:57], v[42:43] op_sel:[0,1] op_sel_hi:[1,0] neg_lo:[0,1] neg_hi:[0,1]
	v_pk_add_f32 v[42:43], v[56:57], v[42:43] op_sel:[0,1] op_sel_hi:[1,0]
	v_pk_add_f32 v[56:57], v[58:59], v[54:55] op_sel:[0,1] op_sel_hi:[1,0] neg_lo:[0,1] neg_hi:[0,1]
	v_pk_add_f32 v[42:43], v[54:55], v[42:43] op_sel:[1,0] op_sel_hi:[0,1]
	v_pk_mul_f32 v[54:55], v[40:41], s[10:11] op_sel_hi:[1,0]
	v_pk_add_f32 v[58:59], v[14:15], v[22:23] neg_lo:[0,1] neg_hi:[0,1]
	v_add_f32_e32 v68, v55, v43
	v_mov_b32_e32 v43, v57
	v_mov_b32_e32 v55, v54
	;; [unrolled: 1-line block ×3, first 2 shown]
	v_pk_fma_f32 v[40:41], v[40:41], s[10:11], v[42:43] op_sel_hi:[1,0,1]
	v_mov_b32_e32 v42, v65
	v_mov_b32_e32 v43, v56
	v_pk_add_f32 v[42:43], v[42:43], v[54:55]
	v_pk_add_f32 v[54:55], v[18:19], v[0:1] neg_lo:[0,1] neg_hi:[0,1]
	v_pk_add_f32 v[56:57], v[22:23], v[14:15] neg_lo:[0,1] neg_hi:[0,1]
	;; [unrolled: 1-line block ×3, first 2 shown]
	v_pk_add_f32 v[56:57], v[56:57], v[54:55]
	v_pk_add_f32 v[54:55], v[0:1], v[18:19] neg_lo:[0,1] neg_hi:[0,1]
	v_pk_mul_f32 v[76:77], v[74:75], s[4:5] op_sel_hi:[1,0]
	v_pk_add_f32 v[58:59], v[58:59], v[54:55]
	v_pk_add_f32 v[54:55], v[18:19], v[22:23]
	v_pk_mul_f32 v[78:79], v[72:73], s[2:3] op_sel_hi:[1,0]
	v_pk_fma_f32 v[70:71], v[54:55], 0.5, v[16:17] op_sel_hi:[1,0,1] neg_lo:[1,0,0] neg_hi:[1,0,0]
	v_mov_b32_e32 v62, v31
	v_pk_add_f32 v[54:55], v[70:71], v[76:77] op_sel:[0,1] op_sel_hi:[1,0]
	v_mov_b32_e32 v63, v30
	v_pk_add_f32 v[60:61], v[54:55], v[78:79] op_sel:[0,1] op_sel_hi:[1,0] neg_lo:[0,1] neg_hi:[0,1]
	v_pk_add_f32 v[54:55], v[54:55], v[78:79] op_sel:[0,1] op_sel_hi:[1,0]
	v_pk_add_f32 v[62:63], v[30:31], v[62:63] neg_lo:[0,1] neg_hi:[0,1]
	v_mov_b32_e32 v61, v55
	v_mov_b32_e32 v54, v33
	;; [unrolled: 1-line block ×3, first 2 shown]
	v_pk_add_f32 v[54:55], v[32:33], v[54:55] neg_lo:[0,1] neg_hi:[0,1]
	v_mov_b32_e32 v11, v26
	v_pk_add_f32 v[54:55], v[54:55], v[62:63]
	v_pk_add_f32 v[62:63], v[36:37], v[10:11] neg_lo:[0,1] neg_hi:[0,1]
	v_add_f32_e32 v11, v27, v26
	v_mov_b32_e32 v80, v4
	v_fmac_f32_e32 v80, -0.5, v11
	v_pk_mul_f32 v[48:49], v[48:49], s[4:5]
	v_mov_b32_e32 v62, v26
	v_sub_f32_e32 v4, v80, v48
	v_pk_add_f32 v[52:53], v[52:53], v[62:63]
	v_sub_f32_e32 v39, v4, v49
	s_mov_b32 s1, s10
	v_mov_b32_e32 v4, v27
	v_pk_add_f32 v[62:63], v[52:53], v[4:5]
	v_pk_mul_f32 v[52:53], v[52:53], s[0:1]
	v_pk_mul_f32 v[86:87], v[58:59], s[10:11] op_sel_hi:[1,0]
	v_mov_b32_e32 v63, v53
	v_pk_add_f32 v[82:83], v[62:63], v[38:39]
	v_mov_b32_e32 v39, v38
	v_mov_b32_e32 v38, v37
	v_pk_add_f32 v[38:39], v[26:27], v[38:39] neg_lo:[0,1] neg_hi:[0,1]
	v_pk_add_f32 v[62:63], v[2:3], v[6:7] neg_lo:[0,1] neg_hi:[0,1]
	v_add_f32_e32 v11, v38, v39
	v_mul_f32_e32 v38, 0x3e9e377a, v11
	v_pk_add_f32 v[84:85], v[38:39], v[50:51] op_sel_hi:[0,1]
	v_pk_mul_f32 v[50:51], v[56:57], s[10:11] op_sel_hi:[1,0]
	v_pk_add_f32 v[56:57], v[32:33], v[30:31]
	v_pk_fma_f32 v[38:39], v[58:59], s[10:11], v[60:61] op_sel_hi:[1,0,1]
	v_pk_fma_f32 v[58:59], v[56:57], 0.5, v[20:21] op_sel_hi:[1,0,0] neg_lo:[1,0,0] neg_hi:[1,0,0]
	v_mov_b32_e32 v81, v64
	v_pk_fma_f32 v[56:57], v[62:63], s[4:5], v[58:59] op_sel_hi:[1,0,1]
	v_pk_fma_f32 v[60:61], v[62:63], s[4:5], v[58:59] op_sel_hi:[1,0,1] neg_lo:[1,0,0] neg_hi:[1,0,0]
	v_mov_b32_e32 v11, v10
	v_mov_b32_e32 v10, v48
	;; [unrolled: 1-line block ×4, first 2 shown]
	v_pk_add_f32 v[10:11], v[80:81], v[10:11]
	v_mov_b32_e32 v48, v49
	v_mov_b32_e32 v49, v28
	v_pk_fma_f32 v[56:57], v[62:63], s[2:3], v[56:57] op_sel_hi:[1,0,1] neg_lo:[1,0,0] neg_hi:[1,0,0]
	v_mov_b32_e32 v90, v45
	v_mov_b32_e32 v91, v47
	v_pk_add_f32 v[10:11], v[10:11], v[48:49]
	v_mov_b32_e32 v48, v53
	v_mov_b32_e32 v49, v12
	v_pk_fma_f32 v[56:57], v[54:55], s[10:11], v[56:57] op_sel_hi:[1,0,1]
	v_mov_b32_e32 v88, v46
	v_mov_b32_e32 v89, v44
	s_mov_b32 s11, 0xbe9e377a
	v_pk_mul_f32 v[90:91], v[90:91], s[4:5] op_sel_hi:[1,0]
	v_pk_add_f32 v[10:11], v[48:49], v[10:11]
	s_mov_b32 s12, 0x3f4f1bbd
	v_mul_f32_e32 v12, 0x3f167918, v68
	v_pk_fma_f32 v[88:89], v[88:89], s[10:11], v[90:91] neg_lo:[0,0,1] neg_hi:[0,0,1]
	v_fma_f32 v49, v43, s12, -v12
	v_mov_b32_e32 v48, v11
	v_mad_u32_u24 v67, v66, 40, 0
	v_pk_add_f32 v[52:53], v[84:85], v[88:89]
	v_pk_add_f32 v[64:65], v[82:83], v[48:49]
	s_mov_b32 s15, 0xbf4f1bbd
	v_mul_f32_e32 v12, 0x3f167918, v41
	ds_write2_b64 v67, v[64:65], v[52:53] offset1:1
	v_mov_b32_e32 v48, v49
	v_mov_b32_e32 v49, v88
	v_mov_b32_e32 v52, v83
	v_mov_b32_e32 v53, v84
	v_mov_b32_e32 v81, v82
	v_fma_f32 v80, v40, s15, -v12
	v_pk_add_f32 v[48:49], v[52:53], v[48:49] neg_lo:[0,1] neg_hi:[0,1]
	v_pk_add_f32 v[52:53], v[80:81], v[10:11]
	v_pk_add_f32 v[64:65], v[80:81], v[10:11] neg_lo:[0,1] neg_hi:[0,1]
	v_pk_add_f32 v[70:71], v[70:71], v[76:77] op_sel:[0,1] op_sel_hi:[1,0] neg_lo:[0,1] neg_hi:[0,1]
	v_mov_b32_e32 v53, v65
	ds_write2_b64 v67, v[52:53], v[48:49] offset0:2 offset1:3
	v_mov_b32_e32 v48, v1
	v_mov_b32_e32 v49, v14
	;; [unrolled: 1-line block ×4, first 2 shown]
	v_pk_add_f32 v[48:49], v[48:49], v[52:53]
	v_mov_b32_e32 v52, v17
	v_mov_b32_e32 v53, v16
	v_pk_fma_f32 v[48:49], v[48:49], 0.5, v[52:53] op_sel_hi:[1,0,1] neg_lo:[1,0,0] neg_hi:[1,0,0]
	v_mov_b32_e32 v64, v39
	v_pk_fma_f32 v[76:77], v[72:73], s[4:5], v[48:49] op_sel_hi:[1,0,1]
	v_pk_fma_f32 v[48:49], v[72:73], s[4:5], v[48:49] op_sel_hi:[1,0,1] neg_lo:[1,0,0] neg_hi:[1,0,0]
	s_mov_b32 s13, s10
	v_pk_fma_f32 v[52:53], v[74:75], s[2:3], v[48:49] op_sel_hi:[1,0,1]
	v_pk_fma_f32 v[48:49], v[74:75], s[2:3], v[48:49] op_sel_hi:[1,0,1] neg_lo:[1,0,0] neg_hi:[1,0,0]
	v_pk_mul_f32 v[72:73], v[74:75], s[2:3] op_sel_hi:[1,0]
	v_mov_b32_e32 v53, v49
	v_pk_add_f32 v[52:53], v[50:51], v[52:53] op_sel:[1,0] op_sel_hi:[0,1]
	v_mov_b32_e32 v65, v52
	v_mov_b32_e32 v48, v53
	;; [unrolled: 1-line block ×3, first 2 shown]
	v_pk_mul_f32 v[64:65], v[64:65], s[2:3]
	v_mov_b32_e32 v74, v70
	v_pk_fma_f32 v[64:65], v[48:49], s[12:13], v[64:65] neg_lo:[0,0,1] neg_hi:[0,0,1]
	v_mov_b32_e32 v48, v79
	v_mov_b32_e32 v49, v73
	;; [unrolled: 1-line block ×5, first 2 shown]
	v_pk_add_f32 v[48:49], v[48:49], v[74:75]
	v_mov_b32_e32 v74, v86
	v_pk_add_f32 v[70:71], v[76:77], v[72:73] neg_lo:[0,1] neg_hi:[0,1]
	v_mov_b32_e32 v86, v51
	v_mov_b32_e32 v75, v50
	v_pk_add_f32 v[50:51], v[86:87], v[70:71]
	v_mov_b32_e32 v70, v85
	v_mov_b32_e32 v71, v10
	;; [unrolled: 1-line block ×4, first 2 shown]
	v_pk_add_f32 v[10:11], v[70:71], v[10:11] neg_lo:[0,1] neg_hi:[0,1]
	v_pk_add_f32 v[48:49], v[74:75], v[48:49]
	ds_write_b64 v67, v[10:11] offset:32
	v_cmp_gt_u32_e64 s[0:1], 54, v66
	v_pk_add_f32 v[10:11], v[56:57], v[64:65] neg_lo:[0,1] neg_hi:[0,1]
	s_and_saveexec_b64 s[16:17], s[0:1]
	s_cbranch_execz .LBB0_15
; %bb.14:
	v_pk_mul_f32 v[70:71], v[62:63], s[4:5] op_sel_hi:[1,0]
	v_pk_add_f32 v[72:73], v[20:21], v[32:33]
	v_pk_mul_f32 v[62:63], v[62:63], s[2:3] op_sel_hi:[1,0]
	v_pk_add_f32 v[74:75], v[16:17], v[18:19]
	v_mov_b32_e32 v70, v71
	v_mov_b32_e32 v71, v72
	;; [unrolled: 1-line block ×4, first 2 shown]
	v_pk_mul_f32 v[54:55], v[54:55], s[10:11] op_sel_hi:[1,0]
	v_mov_b32_e32 v12, v63
	v_pk_add_f32 v[74:75], v[74:75], v[0:1]
	v_pk_add_f32 v[58:59], v[70:71], v[58:59]
	v_mov_b32_e32 v63, v31
	v_pk_add_f32 v[60:61], v[12:13], v[60:61]
	v_mov_b32_e32 v12, v55
	v_pk_add_f32 v[74:75], v[14:15], v[74:75]
	v_pk_add_f32 v[58:59], v[62:63], v[58:59]
	v_mov_b32_e32 v55, v30
	v_pk_add_f32 v[74:75], v[22:23], v[74:75]
	v_pk_add_f32 v[54:55], v[54:55], v[58:59]
	s_mov_b32 s18, 0xbf737871
	v_mov_b32_e32 v75, v64
	v_mov_b32_e32 v58, v55
	;; [unrolled: 1-line block ×3, first 2 shown]
	s_mov_b32 s19, 0xbf167918
	v_mov_b32_e32 v76, v57
	v_pk_add_f32 v[56:57], v[58:59], v[74:75]
	s_mov_b32 s14, s11
	v_pk_mul_f32 v[58:59], v[50:51], s[18:19]
	v_pk_add_f32 v[60:61], v[12:13], v[60:61]
	v_pk_fma_f32 v[58:59], v[48:49], s[14:15], v[58:59]
	v_mov_b32_e32 v77, v60
	v_mov_b32_e32 v62, v65
	;; [unrolled: 1-line block ×3, first 2 shown]
	v_add_u32_e32 v12, 0xe10, v67
	v_pk_add_f32 v[62:63], v[76:77], v[62:63]
	v_mov_b32_e32 v61, v54
	ds_write2_b64 v12, v[56:57], v[62:63] offset1:1
	v_pk_add_f32 v[56:57], v[60:61], v[58:59] neg_lo:[0,1] neg_hi:[0,1]
	v_mov_b32_e32 v12, v59
	v_mov_b32_e32 v58, v59
	;; [unrolled: 1-line block ×3, first 2 shown]
	v_pk_add_f32 v[60:61], v[54:55], v[12:13]
	v_pk_add_f32 v[54:55], v[54:55], v[58:59] neg_lo:[0,1] neg_hi:[0,1]
	v_add_u32_e32 v28, 0xe20, v67
	v_mov_b32_e32 v61, v55
	ds_write2_b64 v28, v[60:61], v[10:11] offset1:1
	ds_write_b64 v67, v[56:57] offset:3632
.LBB0_15:
	s_or_b64 exec, exec, s[16:17]
	v_mov_b32_e32 v56, v34
	v_mov_b32_e32 v57, v24
	;; [unrolled: 1-line block ×4, first 2 shown]
	v_pk_add_f32 v[60:61], v[56:57], v[58:59] neg_lo:[0,1] neg_hi:[0,1]
	v_pk_add_f32 v[54:55], v[34:35], v[24:25]
	v_pk_add_f32 v[26:27], v[26:27], v[4:5] neg_lo:[0,1] neg_hi:[0,1]
	v_mov_b32_e32 v4, v61
	v_mul_f32_e32 v55, 0.5, v55
	v_pk_add_f32 v[60:61], v[60:61], v[4:5]
	v_mul_f32_e32 v4, 0.5, v54
	v_pk_add_f32 v[56:57], v[58:59], v[56:57] neg_lo:[0,1] neg_hi:[0,1]
	v_mov_b32_e32 v54, v34
	v_mov_b32_e32 v61, v26
	s_mov_b32 s11, s2
	v_add_f32_e32 v12, v56, v57
	v_pk_add_f32 v[56:57], v[36:37], v[34:35]
	v_pk_add_f32 v[54:55], v[36:37], v[54:55] op_sel_hi:[0,1] neg_lo:[0,1] neg_hi:[0,1]
	s_mov_b32 s3, s2
	v_pk_add_f32 v[4:5], v[36:37], v[4:5] neg_lo:[0,1] neg_hi:[0,1]
	v_pk_mul_f32 v[60:61], v[60:61], s[10:11]
	v_mul_f32_e32 v28, 0x3f737871, v26
	v_mov_b32_e32 v57, v55
	v_mov_b32_e32 v34, v29
	v_mul_f32_e32 v27, 0x3f737871, v5
	v_fmamk_f32 v37, v26, 0xbf737871, v4
	v_mov_b32_e32 v29, 0x3f167918
	v_pk_mul_f32 v[62:63], v[4:5], s[2:3]
	v_mov_b32_e32 v26, v35
	v_mov_b32_e32 v58, v25
	v_mov_b32_e32 v59, v61
	v_pk_add_f32 v[64:65], v[4:5], v[28:29]
	v_mov_b32_e32 v36, v63
	v_pk_add_f32 v[26:27], v[56:57], v[26:27]
	v_mov_b32_e32 v25, v60
	v_pk_fma_f32 v[28:29], v[4:5], v[28:29], v[36:37]
	v_pk_add_f32 v[36:37], v[64:65], v[36:37] neg_lo:[0,1] neg_hi:[0,1]
	v_pk_add_f32 v[26:27], v[26:27], v[58:59]
	s_mov_b32 s5, s10
	v_mul_f32_e32 v12, 0x3e9e377a, v12
	v_mov_b32_e32 v37, v29
	v_pk_add_f32 v[24:25], v[26:27], v[24:25]
	v_pk_mul_f32 v[26:27], v[46:47], s[4:5]
	v_mul_f32_e32 v35, 0x3f4f1bbd, v68
	v_pk_add_f32 v[28:29], v[12:13], v[36:37] op_sel_hi:[0,1]
	v_pk_fma_f32 v[36:37], v[44:45], s[4:5], v[26:27] op_sel:[0,0,1] op_sel_hi:[1,1,0]
	v_pk_fma_f32 v[26:27], v[44:45], s[4:5], v[26:27] op_sel:[0,0,1] op_sel_hi:[1,1,0] neg_lo:[0,0,1] neg_hi:[0,0,1]
	v_pk_add_f32 v[44:45], v[42:43], v[34:35]
	v_pk_mul_f32 v[42:43], v[42:43], s[2:3]
	v_mov_b32_e32 v34, v13
	v_mov_b32_e32 v45, v43
	s_mov_b32 s3, s12
	v_fmac_f32_e32 v55, 0xbf737871, v5
	v_pk_add_f32 v[12:13], v[44:45], v[34:35]
	v_pk_mul_f32 v[34:35], v[40:41], s[2:3]
	v_sub_f32_e32 v4, v55, v61
	v_mov_b32_e32 v34, v35
	v_add_f32_e32 v4, v60, v4
	v_mov_b32_e32 v27, v37
	v_pk_fma_f32 v[34:35], v[40:41], s[2:3], v[34:35] neg_lo:[0,0,1] neg_hi:[0,0,1]
	v_pk_add_f32 v[62:63], v[28:29], v[26:27]
	v_pk_add_f32 v[64:65], v[24:25], v[12:13]
	v_pk_add_f32 v[68:69], v[4:5], v[34:35]
	v_pk_add_f32 v[70:71], v[24:25], v[12:13] neg_lo:[0,1] neg_hi:[0,1]
	v_mov_b32_e32 v24, v25
	v_mov_b32_e32 v25, v29
	;; [unrolled: 1-line block ×3, first 2 shown]
	v_pk_add_f32 v[4:5], v[2:3], v[6:7]
	v_pk_add_f32 v[46:47], v[32:33], v[30:31] neg_lo:[0,1] neg_hi:[0,1]
	v_pk_fma_f32 v[4:5], -0.5, v[4:5], v[20:21] op_sel:[0,0,1] op_sel_hi:[0,1,1]
	v_pk_fma_f32 v[44:45], v[46:47], s[4:5], v[4:5] op_sel_hi:[1,0,1] neg_lo:[1,0,0] neg_hi:[1,0,0]
	v_pk_fma_f32 v[42:43], v[46:47], s[4:5], v[4:5] op_sel_hi:[1,0,1]
	v_mov_b32_e32 v36, v13
	v_mov_b32_e32 v4, v45
	;; [unrolled: 1-line block ×3, first 2 shown]
	v_pk_add_f32 v[72:73], v[24:25], v[36:37] neg_lo:[0,1] neg_hi:[0,1]
	v_pk_add_f32 v[12:13], v[2:3], v[2:3] op_sel:[0,1] op_sel_hi:[1,0] neg_lo:[0,1] neg_hi:[0,1]
	v_pk_add_f32 v[24:25], v[6:7], v[6:7] op_sel:[0,1] op_sel_hi:[1,0] neg_lo:[0,1] neg_hi:[0,1]
	v_pk_fma_f32 v[4:5], v[46:47], s[2:3], v[4:5] op_sel_hi:[1,0,1]
	s_movk_i32 s3, 0xffdc
	v_pk_add_f32 v[54:55], v[12:13], v[24:25]
	v_pk_mul_f32 v[12:13], v[52:53], s[10:11]
	v_mad_i32_i24 v52, v66, s3, v67
	v_mov_b32_e32 v27, v34
	s_mov_b32 s5, s12
	v_add_u32_e32 v42, 0x200, v52
	v_add_u32_e32 v53, 0x400, v52
	;; [unrolled: 1-line block ×7, first 2 shown]
	v_pk_add_f32 v[74:75], v[28:29], v[26:27] neg_lo:[0,1] neg_hi:[0,1]
	v_pk_fma_f32 v[40:41], v[38:39], s[4:5], v[12:13]
	s_waitcnt lgkmcnt(0)
	s_barrier
	ds_read2_b32 v[26:27], v52 offset1:90
	ds_read2_b32 v[38:39], v42 offset0:52 offset1:142
	ds_read2_b32 v[36:37], v53 offset0:104 offset1:194
	;; [unrolled: 1-line block ×7, first 2 shown]
	v_pk_fma_f32 v[4:5], v[54:55], s[10:11], v[4:5] op_sel_hi:[1,0,1]
	v_mov_b32_e32 v76, v63
	v_pk_add_f32 v[12:13], v[4:5], v[40:41] neg_lo:[0,1] neg_hi:[0,1]
	v_mov_b32_e32 v77, v62
	v_mov_b32_e32 v69, v70
	s_waitcnt lgkmcnt(0)
	s_barrier
	ds_write2_b64 v67, v[64:65], v[76:77] offset1:1
	ds_write2_b64 v67, v[68:69], v[72:73] offset0:2 offset1:3
	ds_write_b64 v67, v[74:75] offset:32
	s_and_saveexec_b64 s[4:5], s[0:1]
	s_cbranch_execz .LBB0_17
; %bb.16:
	v_pk_add_f32 v[0:1], v[16:17], v[0:1]
	v_pk_mul_f32 v[46:47], v[46:47], s[2:3] op_sel_hi:[1,0]
	v_pk_add_f32 v[0:1], v[0:1], v[18:19]
	v_pk_add_f32 v[20:21], v[20:21], v[2:3]
	v_mov_b32_e32 v3, v2
	v_pk_add_f32 v[0:1], v[22:23], v[0:1]
	v_pk_add_f32 v[2:3], v[20:21], v[2:3]
	v_pk_add_f32 v[0:1], v[14:15], v[0:1]
	v_mov_b32_e32 v14, v47
	v_mov_b32_e32 v15, v6
	v_pk_mul_f32 v[54:55], v[54:55], s[10:11] op_sel_hi:[1,0]
	v_pk_add_f32 v[16:17], v[44:45], v[14:15] neg_lo:[0,1] neg_hi:[0,1]
	v_pk_add_f32 v[2:3], v[2:3], v[14:15]
	v_mov_b32_e32 v6, v55
	v_mov_b32_e32 v17, v3
	v_pk_add_f32 v[2:3], v[6:7], v[16:17]
	s_mov_b32 s2, 0xbe9e377a
	v_mov_b32_e32 v6, v43
	v_mov_b32_e32 v14, v3
	;; [unrolled: 1-line block ×5, first 2 shown]
	s_mov_b32 s0, 0x3f737871
	s_mov_b32 s3, 0xbf4f1bbd
	v_pk_add_f32 v[6:7], v[6:7], v[46:47] neg_lo:[0,1] neg_hi:[0,1]
	v_pk_add_f32 v[14:15], v[14:15], v[16:17]
	s_mov_b32 s1, 0x3f167918
	v_pk_mul_f32 v[16:17], v[50:51], s[2:3]
	v_pk_add_f32 v[6:7], v[54:55], v[6:7]
	v_pk_fma_f32 v[16:17], v[48:49], s[0:1], v[16:17]
	v_mov_b32_e32 v5, v6
	v_mov_b32_e32 v41, v16
	v_mov_b32_e32 v18, v17
	v_pk_add_f32 v[0:1], v[2:3], v[0:1] neg_lo:[0,1] neg_hi:[0,1]
	v_pk_add_f32 v[4:5], v[4:5], v[40:41]
	v_pk_add_f32 v[18:19], v[2:3], v[18:19]
	v_add_u32_e32 v0, 0xe10, v67
	v_mov_b32_e32 v7, v2
	ds_write2_b64 v0, v[14:15], v[4:5] offset1:1
	v_add_u32_e32 v4, 0xe20, v67
	v_mov_b32_e32 v19, v1
	v_mov_b32_e32 v0, v13
	;; [unrolled: 1-line block ×3, first 2 shown]
	v_pk_add_f32 v[2:3], v[6:7], v[16:17] neg_lo:[0,1] neg_hi:[0,1]
	ds_write2_b64 v4, v[18:19], v[0:1] offset1:1
	ds_write_b64 v67, v[2:3] offset:3632
.LBB0_17:
	s_or_b64 exec, exec, s[4:5]
	s_movk_i32 s0, 0xcd
	v_mul_lo_u16_sdwa v0, v66, s0 dst_sel:DWORD dst_unused:UNUSED_PAD src0_sel:BYTE_0 src1_sel:DWORD
	v_lshrrev_b16_e32 v67, 11, v0
	v_mul_lo_u16_e32 v0, 10, v67
	v_sub_u16_e32 v75, v66, v0
	v_mov_b32_e32 v0, 15
	v_mul_u32_u24_sdwa v0, v75, v0 dst_sel:DWORD dst_unused:UNUSED_PAD src0_sel:BYTE_0 src1_sel:DWORD
	v_lshlrev_b32_e32 v7, 3, v0
	s_waitcnt lgkmcnt(0)
	s_barrier
	global_load_dwordx4 v[20:23], v7, s[8:9]
	global_load_dwordx4 v[44:47], v7, s[8:9] offset:16
	global_load_dwordx4 v[48:51], v7, s[8:9] offset:32
	global_load_dwordx3 v[4:6], v7, s[8:9] offset:48
	global_load_dwordx4 v[0:3], v7, s[8:9] offset:60
	global_load_dwordx4 v[62:65], v7, s[8:9] offset:92
	;; [unrolled: 1-line block ×3, first 2 shown]
	ds_read2_b32 v[16:17], v52 offset1:90
	ds_read2_b32 v[14:15], v42 offset0:52 offset1:142
	ds_read2_b32 v[40:41], v53 offset0:104 offset1:194
	;; [unrolled: 1-line block ×7, first 2 shown]
	global_load_dwordx3 v[72:74], v7, s[8:9] offset:108
	v_mov_b32_e32 v86, v34
	s_waitcnt lgkmcnt(4)
	v_mov_b32_e32 v87, v55
	v_mov_b32_e32 v81, v39
	;; [unrolled: 1-line block ×8, first 2 shown]
	s_waitcnt lgkmcnt(2)
	v_mov_b32_e32 v90, v76
	v_mov_b32_e32 v89, v25
	;; [unrolled: 1-line block ×3, first 2 shown]
	s_mov_b32 s0, 0x3f3504f3
	s_waitcnt lgkmcnt(0)
	s_barrier
	v_cmp_lt_u32_e64 s[2:3], 29, v66
	s_waitcnt vmcnt(7)
	v_mov_b32_e32 v92, v23
	s_waitcnt vmcnt(6)
	v_mov_b32_e32 v93, v44
	s_waitcnt vmcnt(5)
	v_mul_f32_e32 v96, v41, v49
	v_mul_f32_e32 v43, v17, v21
	;; [unrolled: 1-line block ×4, first 2 shown]
	v_mov_b32_e32 v95, v44
	v_mov_b32_e32 v44, v23
	;; [unrolled: 1-line block ×3, first 2 shown]
	v_fmac_f32_e32 v96, v37, v48
	v_mov_b32_e32 v48, v47
	s_waitcnt vmcnt(4)
	v_mov_b32_e32 v47, v4
	v_mov_b32_e32 v4, v50
	v_mov_b32_e32 v94, v22
	v_fmac_f32_e32 v43, v27, v20
	v_fma_f32 v17, v17, v20, -v7
	v_mov_b32_e32 v20, v22
	v_mov_b32_e32 v21, v45
	v_mov_b32_e32 v22, v46
	v_fmac_f32_e32 v59, v36, v46
	v_pk_mul_f32 v[38:39], v[38:39], v[44:45]
	v_mov_b32_e32 v46, v51
	v_pk_mul_f32 v[86:87], v[86:87], v[4:5]
	v_mov_b32_e32 v4, v51
	v_mov_b32_e32 v44, v32
	v_mov_b32_e32 v45, v77
	v_pk_mul_f32 v[20:21], v[82:83], v[20:21]
	s_waitcnt vmcnt(3)
	v_mov_b32_e32 v82, v3
	s_waitcnt vmcnt(1)
	v_mov_b32_e32 v83, v70
	v_pk_fma_f32 v[14:15], v[14:15], v[94:95], v[38:39] neg_lo:[0,0,1] neg_hi:[0,0,1]
	v_pk_fma_f32 v[38:39], v[84:85], v[46:47], v[86:87]
	v_pk_mul_f32 v[36:37], v[36:37], v[48:49]
	v_mov_b32_e32 v46, v50
	v_pk_mul_f32 v[34:35], v[34:35], v[4:5]
	v_pk_fma_f32 v[4:5], v[40:41], v[22:23], v[36:37] neg_lo:[0,0,1] neg_hi:[0,0,1]
	v_pk_fma_f32 v[22:23], v[54:55], v[46:47], v[34:35] neg_lo:[0,0,1] neg_hi:[0,0,1]
	v_pk_mul_f32 v[34:35], v[44:45], v[82:83]
	v_mul_f32_e32 v7, v25, v2
	v_pk_fma_f32 v[20:21], v[80:81], v[92:93], v[20:21]
	v_mov_b32_e32 v81, v2
	v_pk_fma_f32 v[34:35], v[90:91], v[68:69], v[34:35]
	v_mov_b32_e32 v2, v3
	v_mov_b32_e32 v3, v69
	;; [unrolled: 1-line block ×3, first 2 shown]
	v_mul_f32_e32 v97, v79, v64
	v_pk_mul_f32 v[32:33], v[32:33], v[68:69]
	v_mul_f32_e32 v27, v78, v62
	v_fmac_f32_e32 v97, v31, v63
	v_pk_fma_f32 v[32:33], v[76:77], v[2:3], v[32:33] neg_lo:[0,0,1] neg_hi:[0,0,1]
	v_mov_b32_e32 v3, v63
	v_mov_b32_e32 v63, v64
	v_fmac_f32_e32 v27, v30, v71
	v_mov_b32_e32 v2, v71
	v_pk_mul_f32 v[30:31], v[30:31], v[62:63]
	v_mov_b32_e32 v36, v28
	v_mov_b32_e32 v37, v61
	;; [unrolled: 1-line block ×3, first 2 shown]
	s_waitcnt vmcnt(0)
	v_mov_b32_e32 v41, v74
	v_mov_b32_e32 v25, v19
	;; [unrolled: 1-line block ×3, first 2 shown]
	v_pk_fma_f32 v[2:3], v[78:79], v[2:3], v[30:31] neg_lo:[0,0,1] neg_hi:[0,0,1]
	v_mov_b32_e32 v30, v60
	v_mov_b32_e32 v31, v29
	v_pk_mul_f32 v[36:37], v[36:37], v[40:41]
	v_pk_mul_f32 v[80:81], v[24:25], v[80:81]
	v_pk_fma_f32 v[30:31], v[30:31], v[72:73], v[36:37]
	v_mov_b32_e32 v37, v73
	v_mov_b32_e32 v73, v74
	v_fma_f32 v19, v19, v1, -v7
	v_sub_f32_e32 v7, v59, v27
	v_pk_fma_f32 v[48:49], v[88:89], v[0:1], v[80:81]
	v_mov_b32_e32 v36, v65
	v_pk_mul_f32 v[28:29], v[28:29], v[72:73]
	v_mov_b32_e32 v27, v43
	v_pk_fma_f32 v[28:29], v[60:61], v[36:37], v[28:29] neg_lo:[0,0,1] neg_hi:[0,0,1]
	v_pk_add_f32 v[36:37], v[26:27], v[48:49] neg_lo:[0,1] neg_hi:[0,1]
	v_pk_add_f32 v[32:33], v[14:15], v[32:33] neg_lo:[0,1] neg_hi:[0,1]
	v_fma_f32 v40, v26, 2.0, -v36
	v_pk_add_f32 v[26:27], v[20:21], v[34:35] neg_lo:[0,1] neg_hi:[0,1]
	v_pk_add_f32 v[30:31], v[38:39], v[30:31] neg_lo:[0,1] neg_hi:[0,1]
	v_pk_add_f32 v[28:29], v[22:23], v[28:29] neg_lo:[0,1] neg_hi:[0,1]
	v_sub_f32_e32 v25, v96, v97
	v_pk_add_f32 v[2:3], v[4:5], v[2:3] neg_lo:[0,1] neg_hi:[0,1]
	v_fma_f32 v20, v20, 2.0, -v26
	v_fma_f32 v1, v14, 2.0, -v32
	;; [unrolled: 1-line block ×4, first 2 shown]
	v_sub_f32_e32 v19, v17, v19
	v_fma_f32 v50, v59, 2.0, -v7
	v_fma_f32 v51, v96, 2.0, -v25
	;; [unrolled: 1-line block ×9, first 2 shown]
	v_pk_add_f32 v[14:15], v[36:37], v[2:3]
	v_sub_f32_e32 v3, v20, v34
	v_sub_f32_e32 v17, v1, v22
	v_pk_add_f32 v[22:23], v[32:33], v[30:31] neg_lo:[0,1] neg_hi:[0,1]
	v_sub_f32_e32 v46, v40, v50
	v_fma_f32 v34, v20, 2.0, -v3
	v_pk_add_f32 v[20:21], v[26:27], v[28:29]
	v_fma_f32 v28, v32, 2.0, -v22
	v_sub_f32_e32 v29, v35, v51
	v_sub_f32_e32 v32, v19, v25
	;; [unrolled: 1-line block ×3, first 2 shown]
	v_fma_f32 v40, v40, 2.0, -v46
	v_fma_f32 v36, v36, 2.0, -v14
	;; [unrolled: 1-line block ×3, first 2 shown]
	v_sub_f32_e32 v30, v38, v5
	v_fma_f32 v31, v35, 2.0, -v29
	v_fma_f32 v35, v37, 2.0, -v15
	;; [unrolled: 1-line block ×3, first 2 shown]
	v_sub_f32_e32 v50, v43, v44
	v_fma_f32 v19, v41, 2.0, -v49
	v_fma_f32 v27, v27, 2.0, -v21
	;; [unrolled: 1-line block ×5, first 2 shown]
	v_sub_f32_e32 v34, v40, v34
	v_mul_f32_e32 v44, 0x3f3504f3, v26
	v_fmamk_f32 v26, v26, 0xbf3504f3, v36
	v_add_f32_e32 v54, v46, v17
	v_sub_f32_e32 v25, v31, v19
	v_fmamk_f32 v19, v27, 0xbf3504f3, v35
	v_fma_f32 v51, v40, 2.0, -v34
	v_fmac_f32_e32 v26, 0x3f3504f3, v28
	v_fma_f32 v55, v46, 2.0, -v54
	v_pk_mul_f32 v[38:39], v[22:23], s[0:1] op_sel_hi:[1,0]
	v_pk_mul_f32 v[40:41], v[20:21], s[0:1] op_sel_hi:[1,0]
	v_pk_fma_f32 v[20:21], v[20:21], s[0:1], v[14:15] op_sel_hi:[1,0,1]
	v_sub_f32_e32 v46, v5, v43
	v_fmamk_f32 v43, v33, 0xbf3504f3, v48
	v_fmac_f32_e32 v19, 0x3f3504f3, v33
	v_mul_f32_e32 v45, 0x3f3504f3, v28
	v_fma_f32 v28, v36, 2.0, -v26
	v_pk_fma_f32 v[36:37], v[22:23], s[0:1], v[20:21] op_sel_hi:[1,0,1]
	v_fmac_f32_e32 v43, 0xbf3504f3, v27
	v_fma_f32 v47, v35, 2.0, -v19
	v_add_f32_e32 v23, v32, v39
	v_fma_f32 v48, v48, 2.0, -v43
	v_sub_f32_e32 v39, v23, v41
	v_fmamk_f32 v23, v47, 0xbf6c835e, v28
	v_fma_f32 v14, v14, 2.0, -v36
	v_fma_f32 v41, v15, 2.0, -v37
	v_fmac_f32_e32 v23, 0x3ec3ef15, v48
	v_sub_f32_e32 v60, v30, v49
	v_fma_f32 v49, v32, 2.0, -v39
	v_fma_f32 v27, v28, 2.0, -v23
	v_fmamk_f32 v28, v41, 0xbec3ef15, v14
	v_add_f32_e32 v59, v29, v50
	v_fmac_f32_e32 v28, 0x3f6c835e, v49
	v_fma_f32 v21, v29, 2.0, -v59
	v_fma_f32 v29, v14, 2.0, -v28
	v_fmamk_f32 v14, v37, 0x3f6c835e, v36
	v_fmac_f32_e32 v14, 0x3ec3ef15, v39
	v_fma_f32 v20, v31, 2.0, -v25
	v_fmamk_f32 v32, v19, 0x3ec3ef15, v26
	v_fma_f32 v35, v36, 2.0, -v14
	v_mul_u32_u24_e32 v36, 0xa0, v67
	v_fma_f32 v22, v30, 2.0, -v60
	v_sub_f32_e32 v15, v51, v20
	v_mul_f32_e32 v50, 0x3f3504f3, v21
	v_fmamk_f32 v21, v21, 0xbf3504f3, v55
	v_fmac_f32_e32 v32, 0x3f6c835e, v43
	v_fmamk_f32 v33, v59, 0x3f3504f3, v54
	v_or_b32_sdwa v36, v36, v75 dst_sel:DWORD dst_unused:UNUSED_PAD src0_sel:DWORD src1_sel:BYTE_0
	v_fma_f32 v20, v51, 2.0, -v15
	v_fmac_f32_e32 v21, 0x3f3504f3, v22
	v_add_f32_e32 v30, v34, v46
	v_fma_f32 v26, v26, 2.0, -v32
	v_fmac_f32_e32 v33, 0x3f3504f3, v60
	v_lshl_add_u32 v36, v36, 2, 0
	v_mul_f32_e32 v51, 0x3f3504f3, v22
	v_fma_f32 v22, v55, 2.0, -v21
	v_fma_f32 v31, v34, 2.0, -v30
	;; [unrolled: 1-line block ×3, first 2 shown]
	ds_write2_b32 v36, v20, v27 offset1:10
	ds_write2_b32 v36, v22, v29 offset0:20 offset1:30
	ds_write2_b32 v36, v31, v26 offset0:40 offset1:50
	;; [unrolled: 1-line block ×7, first 2 shown]
	s_waitcnt lgkmcnt(0)
	s_barrier
	ds_read2_b32 v[26:27], v52 offset1:90
	ds_read2_b32 v[20:21], v53 offset0:104 offset1:224
	v_add_u32_e32 v53, 0xe00, v52
	ds_read2_b32 v[32:33], v53 offset0:64 offset1:154
	ds_read2_b32 v[34:35], v56 offset0:58 offset1:148
	;; [unrolled: 1-line block ×5, first 2 shown]
	ds_read_b32 v15, v52 offset:5280
	v_mul_f32_e32 v42, 0x3f3504f3, v59
	v_mul_f32_e32 v54, 0x3f3504f3, v60
	v_cmp_gt_u32_e64 s[0:1], 30, v66
	s_and_saveexec_b64 s[4:5], s[0:1]
	s_cbranch_execz .LBB0_19
; %bb.18:
	ds_read_b32 v14, v52 offset:1800
	ds_read_b32 v10, v52 offset:3720
	;; [unrolled: 1-line block ×3, first 2 shown]
.LBB0_19:
	s_or_b64 exec, exec, s[4:5]
	v_mul_f32_e32 v0, v24, v0
	v_fma_f32 v0, v18, v6, -v0
	v_sub_f32_e32 v0, v16, v0
	v_fma_f32 v6, v16, 2.0, -v0
	v_fma_f32 v2, v4, 2.0, -v2
	v_sub_f32_e32 v2, v6, v2
	v_fma_f32 v4, v6, 2.0, -v2
	v_sub_f32_e32 v6, v0, v7
	;; [unrolled: 2-line block ×3, first 2 shown]
	v_sub_f32_e32 v7, v7, v44
	v_fma_f32 v1, v1, 2.0, -v17
	v_sub_f32_e32 v3, v2, v3
	v_add_f32_e32 v16, v6, v38
	v_fmamk_f32 v38, v43, 0x3ec3ef15, v7
	v_sub_f32_e32 v1, v4, v1
	v_fma_f32 v0, v0, 2.0, -v7
	v_sub_f32_e32 v16, v16, v40
	v_fmac_f32_e32 v38, 0xbf6c835e, v19
	v_add_f32_e32 v19, v3, v54
	v_fma_f32 v4, v4, 2.0, -v1
	v_fma_f32 v2, v2, 2.0, -v3
	;; [unrolled: 1-line block ×4, first 2 shown]
	v_fmamk_f32 v17, v48, 0xbf6c835e, v0
	v_sub_f32_e32 v19, v19, v42
	v_sub_f32_e32 v5, v4, v5
	v_fmac_f32_e32 v17, 0xbec3ef15, v47
	v_sub_f32_e32 v18, v2, v51
	v_fmamk_f32 v24, v49, 0xbec3ef15, v6
	v_fma_f32 v40, v3, 2.0, -v19
	v_fmamk_f32 v3, v39, 0x3f6c835e, v16
	v_fma_f32 v4, v4, 2.0, -v5
	v_fma_f32 v0, v0, 2.0, -v17
	v_sub_f32_e32 v18, v18, v50
	v_fmac_f32_e32 v24, 0xbf6c835e, v41
	v_sub_f32_e32 v25, v1, v25
	v_fmac_f32_e32 v3, 0xbec3ef15, v37
	v_fma_f32 v2, v2, 2.0, -v18
	v_fma_f32 v6, v6, 2.0, -v24
	;; [unrolled: 1-line block ×5, first 2 shown]
	s_waitcnt lgkmcnt(0)
	s_barrier
	ds_write2_b32 v36, v4, v0 offset1:10
	ds_write2_b32 v36, v2, v6 offset0:20 offset1:30
	ds_write2_b32 v36, v1, v7 offset0:40 offset1:50
	;; [unrolled: 1-line block ×7, first 2 shown]
	v_add_u32_e32 v0, 0x400, v52
	s_waitcnt lgkmcnt(0)
	s_barrier
	ds_read2_b32 v[6:7], v52 offset1:90
	ds_read2_b32 v[4:5], v0 offset0:104 offset1:224
	ds_read2_b32 v[36:37], v53 offset0:64 offset1:154
	v_add_u32_e32 v0, 0x800, v52
	ds_read2_b32 v[38:39], v0 offset0:58 offset1:148
	v_add_u32_e32 v0, 0x200, v52
	;; [unrolled: 2-line block ×4, first 2 shown]
	ds_read2_b32 v[16:17], v0 offset0:110 offset1:200
	ds_read_b32 v53, v52 offset:5280
	s_and_saveexec_b64 s[4:5], s[0:1]
	s_cbranch_execz .LBB0_21
; %bb.20:
	ds_read_b32 v3, v52 offset:1800
	ds_read_b32 v13, v52 offset:3720
	;; [unrolled: 1-line block ×3, first 2 shown]
.LBB0_21:
	s_or_b64 exec, exec, s[4:5]
	s_movk_i32 s4, 0x46
	v_lshlrev_b32_e32 v40, 1, v66
	v_mov_b32_e32 v41, 0
	v_add_u32_e32 v61, 0x5a, v66
	v_add_u32_e32 v2, 0xffffffba, v66
	v_cmp_gt_u32_e64 s[4:5], s4, v66
	v_lshl_add_u64 v[0:1], v[40:41], 3, s[8:9]
	v_add_u32_e32 v40, 40, v40
	v_cndmask_b32_e64 v55, v2, v61, s[4:5]
	v_lshl_add_u64 v[42:43], v[40:41], 3, s[8:9]
	v_lshlrev_b32_e32 v40, 1, v55
	v_lshl_add_u64 v[40:41], v[40:41], 3, s[8:9]
	v_add_u32_e32 v60, 0x10e, v66
	v_add_u32_e32 v59, 0x168, v66
	s_mov_b32 s4, 0xcccd
	global_load_dwordx4 v[48:51], v[42:43], off offset:1200
	global_load_dwordx4 v[62:65], v[40:41], off offset:1200
	v_add_u32_e32 v58, 0x1c2, v66
	v_mul_u32_u24_sdwa v2, v60, s4 dst_sel:DWORD dst_unused:UNUSED_PAD src0_sel:WORD_0 src1_sel:DWORD
	v_mul_u32_u24_sdwa v40, v59, s4 dst_sel:DWORD dst_unused:UNUSED_PAD src0_sel:WORD_0 src1_sel:DWORD
	;; [unrolled: 1-line block ×3, first 2 shown]
	v_lshrrev_b32_e32 v67, 23, v2
	v_lshrrev_b32_e32 v2, 23, v40
	;; [unrolled: 1-line block ×3, first 2 shown]
	v_mul_lo_u16_e32 v41, 0xa0, v67
	v_mul_lo_u16_e32 v2, 0xa0, v2
	v_sub_u16_e32 v80, v60, v41
	v_sub_u16_e32 v81, v59, v2
	v_lshlrev_b32_e32 v41, 4, v80
	v_lshlrev_b32_e32 v2, 4, v81
	global_load_dwordx4 v[68:71], v41, s[8:9] offset:1200
	global_load_dwordx4 v[72:75], v2, s[8:9] offset:1200
	v_mul_lo_u16_e32 v2, 0xa0, v40
	global_load_dwordx4 v[44:47], v[0:1], off offset:1200
	v_sub_u16_e32 v54, v58, v2
	v_lshlrev_b32_e32 v2, 4, v54
	global_load_dwordx4 v[76:79], v2, s[8:9] offset:1200
	s_movk_i32 s4, 0x45
	v_cmp_lt_u32_e64 s[4:5], s4, v66
	s_waitcnt lgkmcnt(0)
	s_barrier
	s_waitcnt vmcnt(4)
	v_mul_f32_e32 v43, v37, v65
	v_fmac_f32_e32 v43, v33, v64
	s_waitcnt vmcnt(1)
	v_mul_f32_e32 v40, v5, v45
	v_mul_f32_e32 v41, v36, v47
	;; [unrolled: 1-line block ×4, first 2 shown]
	v_fmac_f32_e32 v40, v21, v44
	v_fmac_f32_e32 v41, v32, v46
	v_mul_f32_e32 v21, v35, v49
	v_mul_f32_e32 v32, v30, v51
	v_fma_f32 v44, v5, v44, -v2
	v_fma_f32 v45, v36, v46, -v42
	v_mul_f32_e32 v2, v39, v49
	v_mul_f32_e32 v42, v38, v63
	v_fma_f32 v36, v39, v48, -v21
	v_fma_f32 v39, v18, v50, -v32
	v_add_f32_e32 v21, v40, v41
	s_waitcnt vmcnt(0)
	v_mul_f32_e32 v32, v13, v77
	v_mul_f32_e32 v5, v18, v51
	v_fmac_f32_e32 v42, v34, v62
	v_mul_f32_e32 v57, v10, v77
	v_fmac_f32_e32 v32, v10, v76
	v_fma_f32 v21, -0.5, v21, v26
	v_sub_f32_e32 v10, v44, v45
	v_mul_f32_e32 v46, v34, v63
	v_mul_f32_e32 v47, v33, v65
	v_fmac_f32_e32 v5, v30, v50
	v_add_f32_e32 v18, v26, v40
	v_mul_f32_e32 v30, v28, v69
	v_fmamk_f32 v26, v10, 0xbf5db3d7, v21
	v_fmac_f32_e32 v21, 0x3f5db3d7, v10
	v_add_f32_e32 v10, v27, v42
	v_fmac_f32_e32 v2, v35, v48
	v_fma_f32 v48, v38, v62, -v46
	v_fma_f32 v50, v37, v64, -v47
	;; [unrolled: 1-line block ×3, first 2 shown]
	v_add_f32_e32 v30, v10, v43
	v_add_f32_e32 v10, v42, v43
	v_mul_f32_e32 v47, v19, v71
	v_fmac_f32_e32 v27, -0.5, v10
	v_sub_f32_e32 v10, v48, v50
	v_mul_f32_e32 v34, v31, v71
	v_mul_f32_e32 v62, v15, v75
	v_fmac_f32_e32 v47, v31, v70
	v_fmamk_f32 v31, v10, 0xbf5db3d7, v27
	v_fmac_f32_e32 v27, 0x3f5db3d7, v10
	v_add_f32_e32 v10, v22, v2
	v_mul_f32_e32 v46, v16, v69
	v_fma_f32 v51, v19, v70, -v34
	v_fma_f32 v19, v53, v74, -v62
	v_add_f32_e32 v62, v10, v5
	v_add_f32_e32 v10, v2, v5
	v_fmac_f32_e32 v46, v28, v68
	v_fma_f32 v22, -0.5, v10, v22
	v_sub_f32_e32 v10, v36, v39
	v_fmamk_f32 v63, v10, 0xbf5db3d7, v22
	v_fmac_f32_e32 v22, 0x3f5db3d7, v10
	v_add_f32_e32 v10, v23, v46
	v_mul_f32_e32 v37, v17, v73
	v_add_f32_e32 v64, v10, v47
	v_add_f32_e32 v10, v46, v47
	v_mul_f32_e32 v38, v53, v75
	v_fmac_f32_e32 v37, v29, v72
	v_fmac_f32_e32 v23, -0.5, v10
	v_sub_f32_e32 v10, v49, v51
	v_mul_f32_e32 v35, v29, v73
	v_mul_f32_e32 v56, v12, v79
	v_fmac_f32_e32 v38, v15, v74
	v_fmamk_f32 v65, v10, 0xbf5db3d7, v23
	v_fmac_f32_e32 v23, 0x3f5db3d7, v10
	v_add_f32_e32 v10, v20, v37
	v_mul_f32_e32 v33, v13, v76
	v_mul_f32_e32 v13, v11, v79
	v_fma_f32 v16, v17, v72, -v35
	v_fmac_f32_e32 v56, v11, v78
	v_add_f32_e32 v68, v10, v38
	v_add_f32_e32 v10, v37, v38
	v_fmac_f32_e32 v20, -0.5, v10
	v_sub_f32_e32 v10, v16, v19
	v_add_f32_e32 v11, v32, v56
	v_fma_f32 v17, v12, v78, -v13
	v_pk_add_f32 v[34:35], v[32:33], v[56:57] neg_lo:[0,1] neg_hi:[0,1]
	v_fmamk_f32 v69, v10, 0xbf5db3d7, v20
	v_fmac_f32_e32 v20, 0x3f5db3d7, v10
	v_sub_f32_e32 v10, v35, v17
	v_mov_b32_e32 v28, 0x3f5db3d7
	v_mov_b32_e32 v29, v14
	v_fmac_f32_e32 v14, -0.5, v11
	v_mov_b32_e32 v11, v32
	v_pk_mul_f32 v[12:13], v[28:29], v[10:11]
	v_pk_add_f32 v[10:11], v[28:29], v[10:11]
	v_mov_b32_e32 v15, v56
	v_mov_b32_e32 v13, v11
	v_pk_add_f32 v[10:11], v[12:13], v[14:15]
	v_mov_b32_e32 v13, 0x780
	v_cndmask_b32_e64 v13, 0, v13, s[4:5]
	v_lshlrev_b32_e32 v15, 2, v55
	v_lshl_add_u32 v53, v66, 2, 0
	v_add_f32_e32 v18, v18, v41
	v_add3_u32 v13, 0, v13, v15
	v_add_u32_e32 v15, 0x700, v53
	ds_write2_b32 v52, v18, v26 offset1:160
	ds_write_b32 v52, v21 offset:1280
	ds_write2_b32 v13, v30, v31 offset1:160
	ds_write_b32 v13, v27 offset:1280
	ds_write2_b32 v15, v62, v63 offset0:52 offset1:212
	ds_write_b32 v53, v22 offset:3280
	v_mul_u32_u24_e32 v15, 0x780, v67
	v_lshlrev_b32_e32 v18, 2, v80
	v_lshl_add_u32 v56, v81, 2, 0
	v_add3_u32 v55, 0, v15, v18
	v_add_u32_e32 v15, 0xe00, v56
	ds_write2_b32 v55, v64, v65 offset1:160
	ds_write_b32 v55, v23 offset:1280
	ds_write2_b32 v15, v68, v69 offset0:64 offset1:224
	ds_write_b32 v56, v20 offset:5120
	s_and_saveexec_b64 s[4:5], s[2:3]
	s_xor_b64 s[4:5], exec, s[4:5]
	s_or_saveexec_b64 s[4:5], s[4:5]
	v_sub_f32_e32 v12, v14, v12
	v_lshl_add_u32 v54, v54, 2, 0
	s_xor_b64 exec, exec, s[4:5]
	s_cbranch_execz .LBB0_23
; %bb.22:
	v_add_u32_e32 v14, 0xe00, v54
	ds_write2_b32 v14, v11, v12 offset0:64 offset1:224
	ds_write_b32 v54, v10 offset:5120
.LBB0_23:
	s_or_b64 exec, exec, s[4:5]
	v_add_u32_e32 v18, 0xe00, v52
	s_waitcnt lgkmcnt(0)
	s_barrier
	ds_read2_b32 v[32:33], v18 offset0:64 offset1:154
	v_add_u32_e32 v18, 0x800, v52
	ds_read2_b32 v[28:29], v18 offset0:58 offset1:148
	v_add_u32_e32 v18, 0x200, v52
	;; [unrolled: 2-line block ×3, first 2 shown]
	v_add_u32_e32 v14, 0x400, v52
	ds_read2_b32 v[26:27], v18 offset0:116 offset1:206
	v_add_u32_e32 v18, 0xa00, v52
	ds_read2_b32 v[30:31], v52 offset1:90
	ds_read2_b32 v[14:15], v14 offset0:104 offset1:224
	ds_read2_b32 v[20:21], v18 offset0:110 offset1:200
	ds_read_b32 v18, v52 offset:5280
	s_and_saveexec_b64 s[4:5], s[2:3]
	s_xor_b64 s[4:5], exec, s[4:5]
	s_andn2_saveexec_b64 s[4:5], s[4:5]
	s_cbranch_execz .LBB0_25
; %bb.24:
	ds_read_b32 v11, v52 offset:1800
	ds_read_b32 v12, v52 offset:3720
	;; [unrolled: 1-line block ×3, first 2 shown]
.LBB0_25:
	s_or_b64 exec, exec, s[4:5]
	v_add_f32_e32 v57, v6, v44
	v_add_f32_e32 v44, v44, v45
	v_fma_f32 v6, -0.5, v44, v6
	v_sub_f32_e32 v40, v40, v41
	v_add_f32_e32 v44, v48, v50
	v_fmamk_f32 v41, v40, 0x3f5db3d7, v6
	v_fmac_f32_e32 v6, 0xbf5db3d7, v40
	v_add_f32_e32 v40, v7, v48
	v_fmac_f32_e32 v7, -0.5, v44
	v_sub_f32_e32 v42, v42, v43
	v_fmamk_f32 v43, v42, 0x3f5db3d7, v7
	v_fmac_f32_e32 v7, 0xbf5db3d7, v42
	v_add_f32_e32 v42, v24, v36
	v_add_f32_e32 v36, v36, v39
	v_fma_f32 v24, -0.5, v36, v24
	v_sub_f32_e32 v2, v2, v5
	v_fmamk_f32 v5, v2, 0x3f5db3d7, v24
	v_fmac_f32_e32 v24, 0xbf5db3d7, v2
	v_add_f32_e32 v2, v25, v49
	v_add_f32_e32 v44, v2, v51
	;; [unrolled: 1-line block ×3, first 2 shown]
	v_fmac_f32_e32 v25, -0.5, v2
	v_sub_f32_e32 v2, v46, v47
	v_add_f32_e32 v57, v57, v45
	v_fmamk_f32 v45, v2, 0x3f5db3d7, v25
	v_fmac_f32_e32 v25, 0xbf5db3d7, v2
	v_add_f32_e32 v2, v4, v16
	v_add_f32_e32 v46, v2, v19
	;; [unrolled: 1-line block ×3, first 2 shown]
	v_fmac_f32_e32 v4, -0.5, v2
	v_sub_f32_e32 v2, v37, v38
	v_fmamk_f32 v19, v2, 0x3f5db3d7, v4
	v_fmac_f32_e32 v4, 0xbf5db3d7, v2
	v_mov_b32_e32 v2, 0x3f5db3d7
	v_add_f32_e32 v42, v42, v39
	v_pk_mul_f32 v[36:37], v[2:3], v[34:35]
	v_pk_add_f32 v[38:39], v[2:3], v[34:35]
	v_add_f32_e32 v2, v35, v17
	v_fmac_f32_e32 v3, -0.5, v2
	v_mov_b32_e32 v37, v39
	v_mov_b32_e32 v16, v3
	v_add_u32_e32 v2, 0x700, v53
	v_add_f32_e32 v40, v40, v50
	v_pk_add_f32 v[16:17], v[36:37], v[16:17]
	s_waitcnt lgkmcnt(0)
	s_barrier
	ds_write2_b32 v52, v57, v41 offset1:160
	ds_write_b32 v52, v6 offset:1280
	ds_write2_b32 v13, v40, v43 offset1:160
	ds_write_b32 v13, v7 offset:1280
	ds_write2_b32 v2, v42, v5 offset0:52 offset1:212
	ds_write_b32 v53, v24 offset:3280
	ds_write2_b32 v55, v44, v45 offset1:160
	ds_write_b32 v55, v25 offset:1280
	v_add_u32_e32 v2, 0xe00, v56
	ds_write2_b32 v2, v46, v19 offset0:64 offset1:224
	ds_write_b32 v56, v4 offset:5120
	s_and_saveexec_b64 s[4:5], s[2:3]
	s_xor_b64 s[4:5], exec, s[4:5]
; %bb.26:
                                        ; implicit-def: $vgpr54
; %bb.27:
	s_or_saveexec_b64 s[4:5], s[4:5]
	v_sub_f32_e32 v24, v3, v36
	s_xor_b64 exec, exec, s[4:5]
	s_cbranch_execz .LBB0_29
; %bb.28:
	v_add_u32_e32 v2, 0xe00, v54
	ds_write2_b32 v2, v17, v16 offset0:64 offset1:224
	ds_write_b32 v54, v24 offset:5120
.LBB0_29:
	s_or_b64 exec, exec, s[4:5]
	v_add_u32_e32 v2, 0x400, v52
	s_waitcnt lgkmcnt(0)
	s_barrier
	ds_read2_b32 v[34:35], v2 offset0:104 offset1:224
	v_add_u32_e32 v2, 0xe00, v52
	ds_read2_b32 v[50:51], v2 offset0:64 offset1:154
	v_add_u32_e32 v2, 0x800, v52
	;; [unrolled: 2-line block ×5, first 2 shown]
	ds_read2_b32 v[48:49], v52 offset1:90
	ds_read2_b32 v[38:39], v2 offset0:110 offset1:200
	ds_read_b32 v36, v52 offset:5280
	s_and_saveexec_b64 s[4:5], s[2:3]
	s_xor_b64 s[2:3], exec, s[4:5]
	s_cbranch_execnz .LBB0_33
; %bb.30:
	s_andn2_saveexec_b64 s[2:3], s[2:3]
	s_cbranch_execnz .LBB0_34
.LBB0_31:
	s_or_b64 exec, exec, s[2:3]
	s_and_saveexec_b64 s[2:3], vcc
	s_cbranch_execnz .LBB0_35
.LBB0_32:
	s_endpgm
.LBB0_33:
                                        ; implicit-def: $vgpr52
	s_andn2_saveexec_b64 s[2:3], s[2:3]
	s_cbranch_execz .LBB0_31
.LBB0_34:
	ds_read_b32 v17, v52 offset:1800
	ds_read_b32 v16, v52 offset:3720
	;; [unrolled: 1-line block ×3, first 2 shown]
	s_or_b64 exec, exec, s[2:3]
	s_and_saveexec_b64 s[2:3], vcc
	s_cbranch_execz .LBB0_32
.LBB0_35:
	global_load_dwordx4 v[0:3], v[0:1], off offset:3760
	v_lshlrev_b32_e32 v44, 1, v59
	v_mov_b32_e32 v45, 0
	v_add_u32_e32 v13, 0xb4, v66
	v_lshl_add_u64 v[56:57], v[44:45], 3, s[8:9]
	v_lshlrev_b32_e32 v44, 1, v60
	v_lshl_add_u64 v[52:53], v[44:45], 3, s[8:9]
	v_lshlrev_b32_e32 v44, 1, v13
	;; [unrolled: 2-line block ×3, first 2 shown]
	v_lshl_add_u64 v[4:5], v[44:45], 3, s[8:9]
	global_load_dwordx4 v[4:7], v[4:5], off offset:3760
	v_mad_u64_u32 v[68:69], s[2:3], s6, v66, 0
	v_add_u32_e32 v19, 0x1e0, v66
	v_mov_b32_e32 v74, v30
	v_mov_b32_e32 v30, v69
	v_mad_u64_u32 v[78:79], s[4:5], s6, v19, 0
	v_mad_u64_u32 v[86:87], s[4:5], s7, v66, v[30:31]
	v_mov_b32_e32 v30, v79
	v_add_u32_e32 v25, 0x3c0, v66
	v_mov_b32_e32 v70, v15
	v_mov_b32_e32 v72, v15
	v_mad_u64_u32 v[76:77], s[4:5], s6, v61, 0
	v_add_u32_e32 v15, 0x23a, v66
	global_load_dwordx4 v[62:65], v[56:57], off offset:3760
	v_mad_u64_u32 v[56:57], s[4:5], s7, v19, v[30:31]
	s_waitcnt lgkmcnt(2)
	v_mov_b32_e32 v75, v48
	v_mad_u64_u32 v[80:81], s[4:5], s6, v25, 0
	v_mov_b32_e32 v48, v77
	v_mad_u64_u32 v[82:83], s[4:5], s6, v15, 0
	v_mov_b32_e32 v79, v56
	global_load_dwordx4 v[54:57], v[54:55], off offset:3760
	v_mov_b32_e32 v88, v81
	v_mad_u64_u32 v[90:91], s[4:5], s7, v61, v[48:49]
	v_mov_b32_e32 v48, v83
	v_mov_b32_e32 v44, v35
	v_mov_b32_e32 v69, v86
	v_mad_u64_u32 v[86:87], s[4:5], s7, v25, v[88:89]
	v_mad_u64_u32 v[88:89], s[4:5], s7, v15, v[48:49]
	v_mov_b32_e32 v81, v86
	v_mov_b32_e32 v83, v88
	s_movk_i32 s3, 0x3c0
	s_mov_b32 s2, 0x3f5db3d7
	v_lshl_add_u64 v[68:69], v[68:69], 3, v[8:9]
	v_lshl_add_u64 v[78:79], v[78:79], 3, v[8:9]
	;; [unrolled: 1-line block ×3, first 2 shown]
	v_add_u32_e32 v35, 0x41a, v66
	v_mad_u64_u32 v[84:85], s[4:5], s6, v35, 0
	v_mov_b32_e32 v48, v31
	v_mov_b32_e32 v92, v85
	;; [unrolled: 1-line block ×3, first 2 shown]
	v_mad_u64_u32 v[90:91], s[4:5], s7, v35, v[92:93]
	v_lshl_add_u64 v[76:77], v[76:77], 3, v[8:9]
	v_mov_b32_e32 v85, v90
	v_lshl_add_u64 v[82:83], v[82:83], 3, v[8:9]
	s_mov_b32 s10, 0x88888889
	s_waitcnt vmcnt(3)
	v_pk_mul_f32 v[86:87], v[44:45], v[0:1] op_sel_hi:[0,1]
	v_pk_mul_f32 v[88:89], v[50:51], v[2:3] op_sel_hi:[0,1]
	v_pk_fma_f32 v[70:71], v[70:71], v[0:1], v[86:87] op_sel:[0,0,1] op_sel_hi:[1,1,0]
	v_pk_fma_f32 v[0:1], v[72:73], v[0:1], v[86:87] op_sel:[0,0,1] op_sel_hi:[0,1,0] neg_lo:[1,0,0] neg_hi:[1,0,0]
	v_pk_fma_f32 v[72:73], v[32:33], v[2:3], v[88:89] op_sel:[0,0,1] op_sel_hi:[1,1,0]
	v_pk_fma_f32 v[2:3], v[32:33], v[2:3], v[88:89] op_sel:[0,0,1] op_sel_hi:[0,1,0] neg_lo:[1,0,0] neg_hi:[1,0,0]
	v_mov_b32_e32 v71, v1
	v_mov_b32_e32 v73, v3
	v_pk_add_f32 v[0:1], v[70:71], v[72:73]
	v_pk_add_f32 v[2:3], v[70:71], v[72:73] neg_lo:[0,1] neg_hi:[0,1]
	v_pk_add_f32 v[70:71], v[74:75], v[70:71]
	v_pk_fma_f32 v[0:1], v[0:1], 0.5, v[74:75] op_sel_hi:[1,0,1] neg_lo:[1,0,0] neg_hi:[1,0,0]
	v_pk_mul_f32 v[2:3], v[2:3], s[2:3] op_sel_hi:[1,0]
	v_pk_add_f32 v[70:71], v[70:71], v[72:73]
	v_pk_add_f32 v[72:73], v[0:1], v[2:3] op_sel:[0,1] op_sel_hi:[1,0]
	v_pk_add_f32 v[0:1], v[0:1], v[2:3] op_sel:[0,1] op_sel_hi:[1,0] neg_lo:[0,1] neg_hi:[0,1]
	v_mov_b32_e32 v3, v73
	v_mov_b32_e32 v2, v0
	global_store_dwordx2 v[68:69], v[70:71], off
	v_mov_b32_e32 v73, v1
	global_store_dwordx2 v[78:79], v[2:3], off
	global_store_dwordx2 v[80:81], v[72:73], off
	s_waitcnt vmcnt(5)
	v_pk_mul_f32 v[2:3], v[46:47], v[4:5] op_sel_hi:[0,1]
	v_pk_fma_f32 v[68:69], v[28:29], v[4:5], v[2:3] op_sel:[0,0,1] op_sel_hi:[1,1,0]
	v_pk_fma_f32 v[2:3], v[28:29], v[4:5], v[2:3] op_sel:[0,0,1] op_sel_hi:[0,1,0] neg_lo:[1,0,0] neg_hi:[1,0,0]
	v_mov_b32_e32 v2, v51
	v_mov_b32_e32 v69, v3
	v_pk_mul_f32 v[2:3], v[2:3], v[6:7] op_sel_hi:[0,1]
	v_mov_b32_e32 v4, v33
	v_mov_b32_e32 v28, v33
	v_pk_fma_f32 v[4:5], v[4:5], v[6:7], v[2:3] op_sel:[0,0,1] op_sel_hi:[1,1,0]
	v_pk_fma_f32 v[2:3], v[28:29], v[6:7], v[2:3] op_sel:[0,0,1] op_sel_hi:[0,1,0] neg_lo:[1,0,0] neg_hi:[1,0,0]
	v_mov_b32_e32 v5, v3
	v_pk_add_f32 v[2:3], v[68:69], v[4:5]
	v_pk_add_f32 v[6:7], v[68:69], v[4:5] neg_lo:[0,1] neg_hi:[0,1]
	v_pk_fma_f32 v[2:3], v[2:3], 0.5, v[48:49] op_sel_hi:[1,0,1] neg_lo:[1,0,0] neg_hi:[1,0,0]
	v_pk_mul_f32 v[6:7], v[6:7], s[2:3] op_sel_hi:[1,0]
	v_lshl_add_u64 v[0:1], v[84:85], 3, v[8:9]
	v_pk_add_f32 v[30:31], v[2:3], v[6:7] op_sel:[0,1] op_sel_hi:[1,0]
	v_pk_add_f32 v[2:3], v[2:3], v[6:7] op_sel:[0,1] op_sel_hi:[1,0] neg_lo:[0,1] neg_hi:[0,1]
	v_pk_add_f32 v[6:7], v[48:49], v[68:69]
	v_mov_b32_e32 v48, v22
	v_pk_add_f32 v[4:5], v[6:7], v[4:5]
	global_store_dwordx2 v[76:77], v[4:5], off
	v_mov_b32_e32 v4, v2
	v_mov_b32_e32 v5, v31
	;; [unrolled: 1-line block ×3, first 2 shown]
	global_store_dwordx2 v[82:83], v[4:5], off
	global_store_dwordx2 v[0:1], v[30:31], off
	global_load_dwordx4 v[0:3], v[52:53], off offset:3760
	v_mul_hi_u32 v4, v13, s10
	v_lshrrev_b32_e32 v4, 8, v4
	v_mad_u32_u24 v13, v4, s3, v13
	v_mad_u64_u32 v[4:5], s[4:5], s6, v13, 0
	v_mov_b32_e32 v6, v5
	v_mad_u64_u32 v[6:7], s[4:5], s7, v13, v[6:7]
	v_add_u32_e32 v15, 0x1e0, v13
	v_mov_b32_e32 v5, v6
	v_mad_u64_u32 v[6:7], s[4:5], s6, v15, 0
	v_mov_b32_e32 v28, v7
	v_mad_u64_u32 v[30:31], s[4:5], s7, v15, v[28:29]
	v_add_u32_e32 v13, 0x3c0, v13
	v_mov_b32_e32 v7, v30
	v_mad_u64_u32 v[30:31], s[4:5], s6, v13, 0
	v_mov_b32_e32 v28, v31
	v_mad_u64_u32 v[32:33], s[4:5], s7, v13, v[28:29]
	v_mov_b32_e32 v28, v47
	v_mov_b32_e32 v31, v32
	s_waitcnt vmcnt(7)
	v_pk_mul_f32 v[32:33], v[28:29], v[54:55] op_sel_hi:[0,1]
	v_mov_b32_e32 v28, v29
	v_pk_fma_f32 v[46:47], v[28:29], v[54:55], v[32:33] op_sel:[0,0,1] op_sel_hi:[1,1,0]
	v_pk_fma_f32 v[28:29], v[28:29], v[54:55], v[32:33] op_sel:[0,0,1] op_sel_hi:[0,1,0] neg_lo:[1,0,0] neg_hi:[1,0,0]
	v_mov_b32_e32 v47, v29
	v_pk_mul_f32 v[28:29], v[42:43], v[56:57] op_sel_hi:[0,1]
	v_pk_fma_f32 v[32:33], v[26:27], v[56:57], v[28:29] op_sel:[0,0,1] op_sel_hi:[1,1,0]
	v_pk_fma_f32 v[28:29], v[26:27], v[56:57], v[28:29] op_sel:[0,0,1] op_sel_hi:[0,1,0] neg_lo:[1,0,0] neg_hi:[1,0,0]
	v_mov_b32_e32 v33, v29
	v_pk_add_f32 v[28:29], v[46:47], v[32:33]
	v_mov_b32_e32 v49, v40
	v_pk_add_f32 v[50:51], v[46:47], v[32:33] neg_lo:[0,1] neg_hi:[0,1]
	v_pk_fma_f32 v[28:29], v[28:29], 0.5, v[48:49] op_sel_hi:[1,0,1] neg_lo:[1,0,0] neg_hi:[1,0,0]
	v_pk_mul_f32 v[50:51], v[50:51], s[2:3] op_sel_hi:[1,0]
	v_pk_add_f32 v[46:47], v[48:49], v[46:47]
	v_lshl_add_u64 v[4:5], v[4:5], 3, v[8:9]
	v_pk_add_f32 v[52:53], v[28:29], v[50:51] op_sel:[0,1] op_sel_hi:[1,0]
	v_pk_add_f32 v[28:29], v[28:29], v[50:51] op_sel:[0,1] op_sel_hi:[1,0] neg_lo:[0,1] neg_hi:[0,1]
	v_pk_add_f32 v[32:33], v[46:47], v[32:33]
	v_lshl_add_u64 v[6:7], v[6:7], 3, v[8:9]
	global_store_dwordx2 v[4:5], v[32:33], off
	v_mov_b32_e32 v4, v28
	v_mov_b32_e32 v5, v53
	global_store_dwordx2 v[6:7], v[4:5], off
	v_mul_hi_u32 v4, v60, s10
	v_lshrrev_b32_e32 v4, 8, v4
	v_mad_u32_u24 v13, v4, s3, v60
	v_mad_u64_u32 v[4:5], s[4:5], s6, v13, 0
	v_mov_b32_e32 v6, v5
	v_mad_u64_u32 v[6:7], s[4:5], s7, v13, v[6:7]
	v_add_u32_e32 v15, 0x1e0, v13
	v_mov_b32_e32 v5, v6
	v_mad_u64_u32 v[6:7], s[4:5], s6, v15, 0
	v_mov_b32_e32 v22, v7
	v_mov_b32_e32 v53, v29
	v_mad_u64_u32 v[28:29], s[4:5], s7, v15, v[22:23]
	v_add_u32_e32 v13, 0x3c0, v13
	v_mov_b32_e32 v7, v28
	v_mad_u64_u32 v[28:29], s[4:5], s6, v13, 0
	v_lshl_add_u64 v[30:31], v[30:31], 3, v[8:9]
	v_mov_b32_e32 v22, v29
	global_store_dwordx2 v[30:31], v[52:53], off
	v_mad_u64_u32 v[30:31], s[4:5], s7, v13, v[22:23]
	v_mov_b32_e32 v29, v30
	v_mov_b32_e32 v40, v23
	v_lshl_add_u64 v[4:5], v[4:5], 3, v[8:9]
	v_lshl_add_u64 v[6:7], v[6:7], 3, v[8:9]
	;; [unrolled: 1-line block ×3, first 2 shown]
	v_mov_b32_e32 v15, v34
	s_waitcnt vmcnt(3) lgkmcnt(1)
	v_pk_mul_f32 v[30:31], v[38:39], v[0:1] op_sel_hi:[0,1]
	v_pk_fma_f32 v[32:33], v[20:21], v[0:1], v[30:31] op_sel:[0,0,1] op_sel_hi:[1,1,0]
	v_pk_fma_f32 v[0:1], v[20:21], v[0:1], v[30:31] op_sel:[0,0,1] op_sel_hi:[0,1,0] neg_lo:[1,0,0] neg_hi:[1,0,0]
	v_mov_b32_e32 v0, v43
	v_mov_b32_e32 v33, v1
	v_pk_mul_f32 v[0:1], v[0:1], v[2:3] op_sel_hi:[0,1]
	v_mov_b32_e32 v20, v27
	v_pk_fma_f32 v[30:31], v[20:21], v[2:3], v[0:1] op_sel:[0,0,1] op_sel_hi:[1,1,0]
	v_pk_fma_f32 v[0:1], v[20:21], v[2:3], v[0:1] op_sel:[0,0,1] op_sel_hi:[0,1,0] neg_lo:[1,0,0] neg_hi:[1,0,0]
	v_mov_b32_e32 v31, v1
	v_pk_add_f32 v[0:1], v[32:33], v[30:31]
	v_pk_add_f32 v[2:3], v[32:33], v[30:31] neg_lo:[0,1] neg_hi:[0,1]
	v_pk_fma_f32 v[0:1], v[0:1], 0.5, v[40:41] op_sel_hi:[1,0,1] neg_lo:[1,0,0] neg_hi:[1,0,0]
	v_pk_mul_f32 v[2:3], v[2:3], s[2:3] op_sel_hi:[1,0]
	v_mov_b32_e32 v20, v21
	v_pk_add_f32 v[22:23], v[0:1], v[2:3] op_sel:[0,1] op_sel_hi:[1,0]
	v_pk_add_f32 v[0:1], v[0:1], v[2:3] op_sel:[0,1] op_sel_hi:[1,0] neg_lo:[0,1] neg_hi:[0,1]
	v_pk_add_f32 v[2:3], v[40:41], v[32:33]
	s_nop 0
	v_pk_add_f32 v[2:3], v[2:3], v[30:31]
	global_store_dwordx2 v[4:5], v[2:3], off
	v_mov_b32_e32 v2, v0
	v_mul_hi_u32 v0, v59, s10
	v_mov_b32_e32 v3, v23
	v_lshrrev_b32_e32 v0, 8, v0
	global_store_dwordx2 v[6:7], v[2:3], off
	v_mad_u32_u24 v6, v0, s3, v59
	v_mov_b32_e32 v23, v1
	v_mad_u64_u32 v[0:1], s[4:5], s6, v6, 0
	v_mov_b32_e32 v2, v1
	v_mad_u64_u32 v[2:3], s[4:5], s7, v6, v[2:3]
	v_add_u32_e32 v5, 0x1e0, v6
	v_mov_b32_e32 v1, v2
	v_mad_u64_u32 v[2:3], s[4:5], s6, v5, 0
	v_mov_b32_e32 v4, v3
	v_mad_u64_u32 v[4:5], s[4:5], s7, v5, v[4:5]
	v_add_u32_e32 v7, 0x3c0, v6
	v_mov_b32_e32 v3, v4
	v_mad_u64_u32 v[4:5], s[4:5], s6, v7, 0
	v_mov_b32_e32 v6, v5
	v_mad_u64_u32 v[6:7], s[4:5], s7, v7, v[6:7]
	v_mov_b32_e32 v5, v6
	v_mov_b32_e32 v6, v39
	v_pk_mul_f32 v[6:7], v[6:7], v[62:63] op_sel_hi:[0,1]
	global_store_dwordx2 v[28:29], v[22:23], off
	v_pk_fma_f32 v[22:23], v[20:21], v[62:63], v[6:7] op_sel:[0,0,1] op_sel_hi:[1,1,0]
	v_pk_fma_f32 v[6:7], v[20:21], v[62:63], v[6:7] op_sel:[0,0,1] op_sel_hi:[0,1,0] neg_lo:[1,0,0] neg_hi:[1,0,0]
	v_mov_b32_e32 v23, v7
	s_waitcnt lgkmcnt(0)
	v_pk_mul_f32 v[6:7], v[36:37], v[64:65] op_sel_hi:[0,1]
	v_pk_fma_f32 v[20:21], v[18:19], v[64:65], v[6:7] op_sel:[0,0,1] op_sel_hi:[1,1,0]
	v_pk_fma_f32 v[6:7], v[18:19], v[64:65], v[6:7] op_sel:[0,0,1] op_sel_hi:[0,1,0] neg_lo:[1,0,0] neg_hi:[1,0,0]
	v_mov_b32_e32 v21, v7
	v_pk_add_f32 v[6:7], v[22:23], v[20:21]
	v_pk_add_f32 v[18:19], v[22:23], v[20:21] neg_lo:[0,1] neg_hi:[0,1]
	v_pk_fma_f32 v[6:7], v[6:7], 0.5, v[14:15] op_sel_hi:[1,0,1] neg_lo:[1,0,0] neg_hi:[1,0,0]
	v_pk_mul_f32 v[18:19], v[18:19], s[2:3] op_sel_hi:[1,0]
	v_pk_add_f32 v[14:15], v[14:15], v[22:23]
	v_lshl_add_u64 v[0:1], v[0:1], 3, v[8:9]
	v_pk_add_f32 v[26:27], v[6:7], v[18:19] op_sel:[0,1] op_sel_hi:[1,0]
	v_pk_add_f32 v[6:7], v[6:7], v[18:19] op_sel:[0,1] op_sel_hi:[1,0] neg_lo:[0,1] neg_hi:[0,1]
	v_pk_add_f32 v[14:15], v[14:15], v[20:21]
	v_lshl_add_u64 v[2:3], v[2:3], 3, v[8:9]
	v_lshl_add_u64 v[4:5], v[4:5], 3, v[8:9]
	global_store_dwordx2 v[0:1], v[14:15], off
	v_mov_b32_e32 v0, v6
	v_mov_b32_e32 v1, v27
	;; [unrolled: 1-line block ×3, first 2 shown]
	global_store_dwordx2 v[2:3], v[0:1], off
	global_store_dwordx2 v[4:5], v[26:27], off
	s_and_b64 exec, exec, s[0:1]
	s_cbranch_execz .LBB0_32
; %bb.36:
	v_subrev_u32_e32 v0, 30, v66
	v_cndmask_b32_e64 v0, v0, v58, s[0:1]
	v_lshlrev_b32_e32 v44, 1, v0
	v_lshl_add_u64 v[0:1], v[44:45], 3, s[8:9]
	global_load_dwordx4 v[0:3], v[0:1], off offset:3760
	v_mad_u64_u32 v[4:5], s[0:1], s6, v58, 0
	v_add_u32_e32 v13, 0x3a2, v66
	v_add_u32_e32 v21, 0x582, v66
	v_mov_b32_e32 v6, v5
	v_mad_u64_u32 v[14:15], s[0:1], s6, v13, 0
	v_mad_u64_u32 v[18:19], s[0:1], s6, v21, 0
	;; [unrolled: 1-line block ×3, first 2 shown]
	v_mov_b32_e32 v20, v15
	v_mov_b32_e32 v22, v19
	;; [unrolled: 1-line block ×3, first 2 shown]
	v_mad_u64_u32 v[6:7], s[0:1], s7, v13, v[20:21]
	v_mad_u64_u32 v[20:21], s[0:1], s7, v21, v[22:23]
	v_mov_b32_e32 v15, v6
	v_mov_b32_e32 v19, v20
	v_lshl_add_u64 v[4:5], v[4:5], 3, v[8:9]
	v_lshl_add_u64 v[6:7], v[14:15], 3, v[8:9]
	;; [unrolled: 1-line block ×3, first 2 shown]
	s_waitcnt vmcnt(0)
	v_pk_mul_f32 v[14:15], v[16:17], v[0:1] op_sel_hi:[0,1]
	v_pk_mul_f32 v[18:19], v[24:25], v[2:3] op_sel_hi:[0,1]
	v_pk_fma_f32 v[20:21], v[12:13], v[0:1], v[14:15] op_sel:[0,0,1] op_sel_hi:[1,1,0]
	v_pk_fma_f32 v[0:1], v[12:13], v[0:1], v[14:15] op_sel:[0,0,1] op_sel_hi:[0,1,0] neg_lo:[1,0,0] neg_hi:[1,0,0]
	v_pk_fma_f32 v[12:13], v[10:11], v[2:3], v[18:19] op_sel:[0,0,1] op_sel_hi:[1,1,0]
	v_pk_fma_f32 v[2:3], v[10:11], v[2:3], v[18:19] op_sel:[0,0,1] op_sel_hi:[0,1,0] neg_lo:[1,0,0] neg_hi:[1,0,0]
	v_mov_b32_e32 v21, v1
	v_mov_b32_e32 v13, v3
	;; [unrolled: 1-line block ×3, first 2 shown]
	v_pk_add_f32 v[0:1], v[20:21], v[12:13]
	v_pk_add_f32 v[2:3], v[20:21], v[12:13] neg_lo:[0,1] neg_hi:[0,1]
	v_pk_add_f32 v[10:11], v[16:17], v[20:21]
	v_pk_fma_f32 v[0:1], -0.5, v[0:1], v[16:17] op_sel_hi:[0,1,1]
	v_pk_mul_f32 v[2:3], v[2:3], s[2:3] op_sel_hi:[1,0]
	v_pk_add_f32 v[10:11], v[10:11], v[12:13]
	v_pk_add_f32 v[12:13], v[0:1], v[2:3] op_sel:[0,1] op_sel_hi:[1,0] neg_lo:[0,1] neg_hi:[0,1]
	v_pk_add_f32 v[0:1], v[0:1], v[2:3] op_sel:[0,1] op_sel_hi:[1,0]
	v_mov_b32_e32 v2, v12
	v_mov_b32_e32 v3, v1
	global_store_dwordx2 v[4:5], v[10:11], off
	v_mov_b32_e32 v1, v13
	global_store_dwordx2 v[6:7], v[2:3], off
	global_store_dwordx2 v[8:9], v[0:1], off
	s_endpgm
	.section	.rodata,"a",@progbits
	.p2align	6, 0x0
	.amdhsa_kernel fft_rtc_back_len1440_factors_10_16_3_3_wgs_90_tpt_90_halfLds_sp_ip_CI_sbrr_dirReg
		.amdhsa_group_segment_fixed_size 0
		.amdhsa_private_segment_fixed_size 0
		.amdhsa_kernarg_size 88
		.amdhsa_user_sgpr_count 2
		.amdhsa_user_sgpr_dispatch_ptr 0
		.amdhsa_user_sgpr_queue_ptr 0
		.amdhsa_user_sgpr_kernarg_segment_ptr 1
		.amdhsa_user_sgpr_dispatch_id 0
		.amdhsa_user_sgpr_kernarg_preload_length 0
		.amdhsa_user_sgpr_kernarg_preload_offset 0
		.amdhsa_user_sgpr_private_segment_size 0
		.amdhsa_uses_dynamic_stack 0
		.amdhsa_enable_private_segment 0
		.amdhsa_system_sgpr_workgroup_id_x 1
		.amdhsa_system_sgpr_workgroup_id_y 0
		.amdhsa_system_sgpr_workgroup_id_z 0
		.amdhsa_system_sgpr_workgroup_info 0
		.amdhsa_system_vgpr_workitem_id 0
		.amdhsa_next_free_vgpr 98
		.amdhsa_next_free_sgpr 24
		.amdhsa_accum_offset 100
		.amdhsa_reserve_vcc 1
		.amdhsa_float_round_mode_32 0
		.amdhsa_float_round_mode_16_64 0
		.amdhsa_float_denorm_mode_32 3
		.amdhsa_float_denorm_mode_16_64 3
		.amdhsa_dx10_clamp 1
		.amdhsa_ieee_mode 1
		.amdhsa_fp16_overflow 0
		.amdhsa_tg_split 0
		.amdhsa_exception_fp_ieee_invalid_op 0
		.amdhsa_exception_fp_denorm_src 0
		.amdhsa_exception_fp_ieee_div_zero 0
		.amdhsa_exception_fp_ieee_overflow 0
		.amdhsa_exception_fp_ieee_underflow 0
		.amdhsa_exception_fp_ieee_inexact 0
		.amdhsa_exception_int_div_zero 0
	.end_amdhsa_kernel
	.text
.Lfunc_end0:
	.size	fft_rtc_back_len1440_factors_10_16_3_3_wgs_90_tpt_90_halfLds_sp_ip_CI_sbrr_dirReg, .Lfunc_end0-fft_rtc_back_len1440_factors_10_16_3_3_wgs_90_tpt_90_halfLds_sp_ip_CI_sbrr_dirReg
                                        ; -- End function
	.section	.AMDGPU.csdata,"",@progbits
; Kernel info:
; codeLenInByte = 10704
; NumSgprs: 30
; NumVgprs: 98
; NumAgprs: 0
; TotalNumVgprs: 98
; ScratchSize: 0
; MemoryBound: 0
; FloatMode: 240
; IeeeMode: 1
; LDSByteSize: 0 bytes/workgroup (compile time only)
; SGPRBlocks: 3
; VGPRBlocks: 12
; NumSGPRsForWavesPerEU: 30
; NumVGPRsForWavesPerEU: 98
; AccumOffset: 100
; Occupancy: 4
; WaveLimiterHint : 1
; COMPUTE_PGM_RSRC2:SCRATCH_EN: 0
; COMPUTE_PGM_RSRC2:USER_SGPR: 2
; COMPUTE_PGM_RSRC2:TRAP_HANDLER: 0
; COMPUTE_PGM_RSRC2:TGID_X_EN: 1
; COMPUTE_PGM_RSRC2:TGID_Y_EN: 0
; COMPUTE_PGM_RSRC2:TGID_Z_EN: 0
; COMPUTE_PGM_RSRC2:TIDIG_COMP_CNT: 0
; COMPUTE_PGM_RSRC3_GFX90A:ACCUM_OFFSET: 24
; COMPUTE_PGM_RSRC3_GFX90A:TG_SPLIT: 0
	.text
	.p2alignl 6, 3212836864
	.fill 256, 4, 3212836864
	.type	__hip_cuid_d12977e9bb02a045,@object ; @__hip_cuid_d12977e9bb02a045
	.section	.bss,"aw",@nobits
	.globl	__hip_cuid_d12977e9bb02a045
__hip_cuid_d12977e9bb02a045:
	.byte	0                               ; 0x0
	.size	__hip_cuid_d12977e9bb02a045, 1

	.ident	"AMD clang version 19.0.0git (https://github.com/RadeonOpenCompute/llvm-project roc-6.4.0 25133 c7fe45cf4b819c5991fe208aaa96edf142730f1d)"
	.section	".note.GNU-stack","",@progbits
	.addrsig
	.addrsig_sym __hip_cuid_d12977e9bb02a045
	.amdgpu_metadata
---
amdhsa.kernels:
  - .agpr_count:     0
    .args:
      - .actual_access:  read_only
        .address_space:  global
        .offset:         0
        .size:           8
        .value_kind:     global_buffer
      - .offset:         8
        .size:           8
        .value_kind:     by_value
      - .actual_access:  read_only
        .address_space:  global
        .offset:         16
        .size:           8
        .value_kind:     global_buffer
      - .actual_access:  read_only
        .address_space:  global
        .offset:         24
        .size:           8
        .value_kind:     global_buffer
      - .offset:         32
        .size:           8
        .value_kind:     by_value
      - .actual_access:  read_only
        .address_space:  global
        .offset:         40
        .size:           8
        .value_kind:     global_buffer
      - .actual_access:  read_only
        .address_space:  global
        .offset:         48
        .size:           8
        .value_kind:     global_buffer
      - .offset:         56
        .size:           4
        .value_kind:     by_value
      - .actual_access:  read_only
        .address_space:  global
        .offset:         64
        .size:           8
        .value_kind:     global_buffer
      - .actual_access:  read_only
        .address_space:  global
        .offset:         72
        .size:           8
        .value_kind:     global_buffer
      - .address_space:  global
        .offset:         80
        .size:           8
        .value_kind:     global_buffer
    .group_segment_fixed_size: 0
    .kernarg_segment_align: 8
    .kernarg_segment_size: 88
    .language:       OpenCL C
    .language_version:
      - 2
      - 0
    .max_flat_workgroup_size: 90
    .name:           fft_rtc_back_len1440_factors_10_16_3_3_wgs_90_tpt_90_halfLds_sp_ip_CI_sbrr_dirReg
    .private_segment_fixed_size: 0
    .sgpr_count:     30
    .sgpr_spill_count: 0
    .symbol:         fft_rtc_back_len1440_factors_10_16_3_3_wgs_90_tpt_90_halfLds_sp_ip_CI_sbrr_dirReg.kd
    .uniform_work_group_size: 1
    .uses_dynamic_stack: false
    .vgpr_count:     98
    .vgpr_spill_count: 0
    .wavefront_size: 64
amdhsa.target:   amdgcn-amd-amdhsa--gfx950
amdhsa.version:
  - 1
  - 2
...

	.end_amdgpu_metadata
